;; amdgpu-corpus repo=ROCm/vllm kind=compiled arch=gfx1100 opt=O3
	.text
	.amdgcn_target "amdgcn-amd-amdhsa--gfx1100"
	.amdhsa_code_object_version 6
	.section	.text._ZN4vllm18act_and_mul_kernelIfTnPFT_RKS1_EXadL_ZNS_11silu_kernelIfEES1_S3_EELb1EEEvPS1_PS2_i,"axG",@progbits,_ZN4vllm18act_and_mul_kernelIfTnPFT_RKS1_EXadL_ZNS_11silu_kernelIfEES1_S3_EELb1EEEvPS1_PS2_i,comdat
	.protected	_ZN4vllm18act_and_mul_kernelIfTnPFT_RKS1_EXadL_ZNS_11silu_kernelIfEES1_S3_EELb1EEEvPS1_PS2_i ; -- Begin function _ZN4vllm18act_and_mul_kernelIfTnPFT_RKS1_EXadL_ZNS_11silu_kernelIfEES1_S3_EELb1EEEvPS1_PS2_i
	.globl	_ZN4vllm18act_and_mul_kernelIfTnPFT_RKS1_EXadL_ZNS_11silu_kernelIfEES1_S3_EELb1EEEvPS1_PS2_i
	.p2align	8
	.type	_ZN4vllm18act_and_mul_kernelIfTnPFT_RKS1_EXadL_ZNS_11silu_kernelIfEES1_S3_EELb1EEEvPS1_PS2_i,@function
_ZN4vllm18act_and_mul_kernelIfTnPFT_RKS1_EXadL_ZNS_11silu_kernelIfEES1_S3_EELb1EEEvPS1_PS2_i: ; @_ZN4vllm18act_and_mul_kernelIfTnPFT_RKS1_EXadL_ZNS_11silu_kernelIfEES1_S3_EELb1EEEvPS1_PS2_i
; %bb.0:
	s_load_b32 s2, s[0:1], 0x10
	s_mov_b32 s3, exec_lo
	s_waitcnt lgkmcnt(0)
	v_cmpx_gt_i32_e64 s2, v0
	s_cbranch_execz .LBB0_3
; %bb.1:
	s_clause 0x1
	s_load_b128 s[8:11], s[0:1], 0x0
	s_load_b32 s0, s[0:1], 0x24
	s_ashr_i32 s3, s2, 31
	s_mul_hi_u32 s1, s15, s2
	s_mul_i32 s4, s15, s3
	s_mul_i32 s12, s15, s2
	s_add_i32 s13, s1, s4
	v_dual_mov_b32 v1, 0 :: v_dual_lshlrev_b32 v2, 2, v0
	s_lshl_b64 s[4:5], s[12:13], 3
	s_delay_alu instid0(VALU_DEP_1) | instskip(SKIP_4) | instid1(SALU_CYCLE_1)
	v_mov_b32_e32 v3, v1
	s_waitcnt lgkmcnt(0)
	s_add_u32 s1, s10, s4
	s_addc_u32 s4, s11, s5
	s_lshl_b64 s[6:7], s[2:3], 2
	s_add_u32 s5, s1, s6
	s_addc_u32 s6, s4, s7
	s_lshl_b64 s[10:11], s[12:13], 2
	s_delay_alu instid0(SALU_CYCLE_1)
	s_add_u32 s7, s8, s10
	s_addc_u32 s8, s9, s11
	s_and_b32 s9, s0, 0xffff
	s_mov_b32 s10, 0
	s_lshl_b32 s11, s9, 2
.LBB0_2:                                ; =>This Inner Loop Header: Depth=1
	v_add_co_u32 v4, vcc_lo, s1, v2
	v_add_co_ci_u32_e32 v5, vcc_lo, s4, v3, vcc_lo
	v_add_co_u32 v0, s0, v0, s9
	s_delay_alu instid0(VALU_DEP_1)
	v_add_co_ci_u32_e64 v1, s0, 0, v1, s0
	global_load_b32 v6, v[4:5], off
	v_add_co_u32 v4, vcc_lo, s5, v2
	v_add_co_ci_u32_e32 v5, vcc_lo, s6, v3, vcc_lo
	global_load_b32 v7, v[4:5], off
	s_waitcnt vmcnt(1)
	v_mul_f32_e32 v4, 0xbfb8aa3b, v6
	v_cmp_nlt_f32_e32 vcc_lo, 0x42ce8ed0, v6
	s_delay_alu instid0(VALU_DEP_2) | instskip(SKIP_1) | instid1(VALU_DEP_1)
	v_fma_f32 v5, 0xbfb8aa3b, v6, -v4
	v_rndne_f32_e32 v8, v4
	v_dual_fmac_f32 v5, 0xb2a5705f, v6 :: v_dual_sub_f32 v4, v4, v8
	s_delay_alu instid0(VALU_DEP_1) | instskip(SKIP_1) | instid1(VALU_DEP_2)
	v_add_f32_e32 v4, v4, v5
	v_cvt_i32_f32_e32 v5, v8
	v_exp_f32_e32 v4, v4
	s_waitcnt_depctr 0xfff
	v_ldexp_f32 v4, v4, v5
	s_delay_alu instid0(VALU_DEP_1) | instskip(SKIP_1) | instid1(VALU_DEP_2)
	v_cndmask_b32_e32 v4, 0, v4, vcc_lo
	v_cmp_ngt_f32_e32 vcc_lo, 0xc2b17218, v6
	v_cndmask_b32_e32 v4, 0x7f800000, v4, vcc_lo
	s_delay_alu instid0(VALU_DEP_1) | instskip(NEXT) | instid1(VALU_DEP_1)
	v_add_f32_e32 v8, 1.0, v4
	v_div_scale_f32 v4, null, v8, v8, v6
	v_div_scale_f32 v10, vcc_lo, v6, v8, v6
	s_delay_alu instid0(VALU_DEP_2) | instskip(SKIP_2) | instid1(VALU_DEP_1)
	v_rcp_f32_e32 v5, v4
	s_waitcnt_depctr 0xfff
	v_fma_f32 v9, -v4, v5, 1.0
	v_fmac_f32_e32 v5, v9, v5
	s_delay_alu instid0(VALU_DEP_1) | instskip(NEXT) | instid1(VALU_DEP_1)
	v_mul_f32_e32 v9, v10, v5
	v_fma_f32 v11, -v4, v9, v10
	s_delay_alu instid0(VALU_DEP_1) | instskip(NEXT) | instid1(VALU_DEP_1)
	v_fmac_f32_e32 v9, v11, v5
	v_fma_f32 v4, -v4, v9, v10
	s_delay_alu instid0(VALU_DEP_1) | instskip(SKIP_2) | instid1(VALU_DEP_3)
	v_div_fmas_f32 v9, v4, v5, v9
	v_add_co_u32 v4, vcc_lo, s7, v2
	v_add_co_ci_u32_e32 v5, vcc_lo, s8, v3, vcc_lo
	v_div_fixup_f32 v6, v9, v8, v6
	v_cmp_le_i64_e32 vcc_lo, s[2:3], v[0:1]
	v_add_co_u32 v2, s0, v2, s11
	s_delay_alu instid0(VALU_DEP_1)
	v_add_co_ci_u32_e64 v3, s0, 0, v3, s0
	s_waitcnt vmcnt(0)
	v_mul_f32_e32 v6, v7, v6
	s_or_b32 s10, vcc_lo, s10
	global_store_b32 v[4:5], v6, off
	s_and_not1_b32 exec_lo, exec_lo, s10
	s_cbranch_execnz .LBB0_2
.LBB0_3:
	s_nop 0
	s_sendmsg sendmsg(MSG_DEALLOC_VGPRS)
	s_endpgm
	.section	.rodata,"a",@progbits
	.p2align	6, 0x0
	.amdhsa_kernel _ZN4vllm18act_and_mul_kernelIfTnPFT_RKS1_EXadL_ZNS_11silu_kernelIfEES1_S3_EELb1EEEvPS1_PS2_i
		.amdhsa_group_segment_fixed_size 0
		.amdhsa_private_segment_fixed_size 0
		.amdhsa_kernarg_size 280
		.amdhsa_user_sgpr_count 15
		.amdhsa_user_sgpr_dispatch_ptr 0
		.amdhsa_user_sgpr_queue_ptr 0
		.amdhsa_user_sgpr_kernarg_segment_ptr 1
		.amdhsa_user_sgpr_dispatch_id 0
		.amdhsa_user_sgpr_private_segment_size 0
		.amdhsa_wavefront_size32 1
		.amdhsa_uses_dynamic_stack 0
		.amdhsa_enable_private_segment 0
		.amdhsa_system_sgpr_workgroup_id_x 1
		.amdhsa_system_sgpr_workgroup_id_y 0
		.amdhsa_system_sgpr_workgroup_id_z 0
		.amdhsa_system_sgpr_workgroup_info 0
		.amdhsa_system_vgpr_workitem_id 0
		.amdhsa_next_free_vgpr 12
		.amdhsa_next_free_sgpr 16
		.amdhsa_reserve_vcc 1
		.amdhsa_float_round_mode_32 0
		.amdhsa_float_round_mode_16_64 0
		.amdhsa_float_denorm_mode_32 3
		.amdhsa_float_denorm_mode_16_64 3
		.amdhsa_dx10_clamp 1
		.amdhsa_ieee_mode 1
		.amdhsa_fp16_overflow 0
		.amdhsa_workgroup_processor_mode 1
		.amdhsa_memory_ordered 1
		.amdhsa_forward_progress 0
		.amdhsa_shared_vgpr_count 0
		.amdhsa_exception_fp_ieee_invalid_op 0
		.amdhsa_exception_fp_denorm_src 0
		.amdhsa_exception_fp_ieee_div_zero 0
		.amdhsa_exception_fp_ieee_overflow 0
		.amdhsa_exception_fp_ieee_underflow 0
		.amdhsa_exception_fp_ieee_inexact 0
		.amdhsa_exception_int_div_zero 0
	.end_amdhsa_kernel
	.section	.text._ZN4vllm18act_and_mul_kernelIfTnPFT_RKS1_EXadL_ZNS_11silu_kernelIfEES1_S3_EELb1EEEvPS1_PS2_i,"axG",@progbits,_ZN4vllm18act_and_mul_kernelIfTnPFT_RKS1_EXadL_ZNS_11silu_kernelIfEES1_S3_EELb1EEEvPS1_PS2_i,comdat
.Lfunc_end0:
	.size	_ZN4vllm18act_and_mul_kernelIfTnPFT_RKS1_EXadL_ZNS_11silu_kernelIfEES1_S3_EELb1EEEvPS1_PS2_i, .Lfunc_end0-_ZN4vllm18act_and_mul_kernelIfTnPFT_RKS1_EXadL_ZNS_11silu_kernelIfEES1_S3_EELb1EEEvPS1_PS2_i
                                        ; -- End function
	.section	.AMDGPU.csdata,"",@progbits
; Kernel info:
; codeLenInByte = 484
; NumSgprs: 18
; NumVgprs: 12
; ScratchSize: 0
; MemoryBound: 0
; FloatMode: 240
; IeeeMode: 1
; LDSByteSize: 0 bytes/workgroup (compile time only)
; SGPRBlocks: 2
; VGPRBlocks: 1
; NumSGPRsForWavesPerEU: 18
; NumVGPRsForWavesPerEU: 12
; Occupancy: 16
; WaveLimiterHint : 0
; COMPUTE_PGM_RSRC2:SCRATCH_EN: 0
; COMPUTE_PGM_RSRC2:USER_SGPR: 15
; COMPUTE_PGM_RSRC2:TRAP_HANDLER: 0
; COMPUTE_PGM_RSRC2:TGID_X_EN: 1
; COMPUTE_PGM_RSRC2:TGID_Y_EN: 0
; COMPUTE_PGM_RSRC2:TGID_Z_EN: 0
; COMPUTE_PGM_RSRC2:TIDIG_COMP_CNT: 0
	.section	.text._ZN4vllm18act_and_mul_kernelIN3c104HalfETnPFT_RKS3_EXadL_ZNS_11silu_kernelIS2_EES3_S5_EELb1EEEvPS3_PS4_i,"axG",@progbits,_ZN4vllm18act_and_mul_kernelIN3c104HalfETnPFT_RKS3_EXadL_ZNS_11silu_kernelIS2_EES3_S5_EELb1EEEvPS3_PS4_i,comdat
	.protected	_ZN4vllm18act_and_mul_kernelIN3c104HalfETnPFT_RKS3_EXadL_ZNS_11silu_kernelIS2_EES3_S5_EELb1EEEvPS3_PS4_i ; -- Begin function _ZN4vllm18act_and_mul_kernelIN3c104HalfETnPFT_RKS3_EXadL_ZNS_11silu_kernelIS2_EES3_S5_EELb1EEEvPS3_PS4_i
	.globl	_ZN4vllm18act_and_mul_kernelIN3c104HalfETnPFT_RKS3_EXadL_ZNS_11silu_kernelIS2_EES3_S5_EELb1EEEvPS3_PS4_i
	.p2align	8
	.type	_ZN4vllm18act_and_mul_kernelIN3c104HalfETnPFT_RKS3_EXadL_ZNS_11silu_kernelIS2_EES3_S5_EELb1EEEvPS3_PS4_i,@function
_ZN4vllm18act_and_mul_kernelIN3c104HalfETnPFT_RKS3_EXadL_ZNS_11silu_kernelIS2_EES3_S5_EELb1EEEvPS3_PS4_i: ; @_ZN4vllm18act_and_mul_kernelIN3c104HalfETnPFT_RKS3_EXadL_ZNS_11silu_kernelIS2_EES3_S5_EELb1EEEvPS3_PS4_i
; %bb.0:
	s_load_b32 s8, s[0:1], 0x10
	s_mov_b32 s2, exec_lo
	s_waitcnt lgkmcnt(0)
	v_cmpx_gt_i32_e64 s8, v0
	s_cbranch_execz .LBB1_12
; %bb.1:
	s_clause 0x1
	s_load_b32 s2, s[0:1], 0x24
	s_load_b128 s[4:7], s[0:1], 0x0
	s_ashr_i32 s9, s8, 31
	s_mov_b32 s0, exec_lo
	s_waitcnt lgkmcnt(0)
	s_and_b32 s3, s2, 0xffff
	s_delay_alu instid0(SALU_CYCLE_1) | instskip(NEXT) | instid1(VALU_DEP_1)
	v_add_co_u32 v1, s2, v0, s3
	v_add_co_ci_u32_e64 v2, null, 0, 0, s2
	s_delay_alu instid0(VALU_DEP_1) | instskip(SKIP_1) | instid1(VALU_DEP_2)
	v_cmp_gt_i64_e64 s2, s[8:9], v[1:2]
	v_cmp_lt_i64_e32 vcc_lo, s[8:9], v[1:2]
	v_cndmask_b32_e64 v6, 0, 1, s2
	v_cndmask_b32_e32 v3, s9, v2, vcc_lo
	v_cndmask_b32_e32 v4, s8, v1, vcc_lo
	s_delay_alu instid0(VALU_DEP_3) | instskip(SKIP_2) | instid1(VALU_DEP_3)
	v_add_co_u32 v5, vcc_lo, v1, v6
	v_mov_b32_e32 v1, 0
	v_add_co_ci_u32_e32 v2, vcc_lo, 0, v2, vcc_lo
	v_sub_co_u32 v7, vcc_lo, v4, v5
                                        ; implicit-def: $vgpr4_vgpr5
	s_delay_alu instid0(VALU_DEP_2) | instskip(NEXT) | instid1(VALU_DEP_4)
	v_sub_co_ci_u32_e32 v3, vcc_lo, v3, v2, vcc_lo
	v_mov_b32_e32 v2, v1
	s_delay_alu instid0(VALU_DEP_1)
	v_cmpx_ne_u64_e32 0, v[2:3]
	s_xor_b32 s1, exec_lo, s0
	s_cbranch_execz .LBB1_3
; %bb.2:
	v_cvt_f32_u32_e32 v2, s3
	s_sub_u32 s0, 0, s3
	s_subb_u32 s2, 0, 0
	s_delay_alu instid0(VALU_DEP_1) | instskip(NEXT) | instid1(VALU_DEP_1)
	v_fmamk_f32 v2, 0, 0x4f800000, v2
	v_rcp_f32_e32 v2, v2
	s_waitcnt_depctr 0xfff
	v_mul_f32_e32 v2, 0x5f7ffffc, v2
	s_delay_alu instid0(VALU_DEP_1) | instskip(NEXT) | instid1(VALU_DEP_1)
	v_mul_f32_e32 v4, 0x2f800000, v2
	v_trunc_f32_e32 v4, v4
	s_delay_alu instid0(VALU_DEP_1) | instskip(SKIP_1) | instid1(VALU_DEP_2)
	v_fmamk_f32 v2, v4, 0xcf800000, v2
	v_cvt_u32_f32_e32 v4, v4
	v_cvt_u32_f32_e32 v2, v2
	s_delay_alu instid0(VALU_DEP_2) | instskip(NEXT) | instid1(VALU_DEP_2)
	v_mul_lo_u32 v5, s0, v4
	v_mul_hi_u32 v8, s0, v2
	v_mul_lo_u32 v9, s2, v2
	s_delay_alu instid0(VALU_DEP_2) | instskip(SKIP_1) | instid1(VALU_DEP_2)
	v_add_nc_u32_e32 v5, v8, v5
	v_mul_lo_u32 v8, s0, v2
	v_add_nc_u32_e32 v5, v5, v9
	s_delay_alu instid0(VALU_DEP_2) | instskip(NEXT) | instid1(VALU_DEP_2)
	v_mul_hi_u32 v9, v2, v8
	v_mul_lo_u32 v10, v2, v5
	v_mul_hi_u32 v11, v2, v5
	v_mul_hi_u32 v12, v4, v8
	v_mul_lo_u32 v8, v4, v8
	v_mul_hi_u32 v13, v4, v5
	v_mul_lo_u32 v5, v4, v5
	v_add_co_u32 v9, vcc_lo, v9, v10
	v_add_co_ci_u32_e32 v10, vcc_lo, 0, v11, vcc_lo
	s_delay_alu instid0(VALU_DEP_2) | instskip(NEXT) | instid1(VALU_DEP_2)
	v_add_co_u32 v8, vcc_lo, v9, v8
	v_add_co_ci_u32_e32 v8, vcc_lo, v10, v12, vcc_lo
	v_add_co_ci_u32_e32 v9, vcc_lo, 0, v13, vcc_lo
	s_delay_alu instid0(VALU_DEP_2) | instskip(NEXT) | instid1(VALU_DEP_2)
	v_add_co_u32 v5, vcc_lo, v8, v5
	v_add_co_ci_u32_e32 v8, vcc_lo, 0, v9, vcc_lo
	s_delay_alu instid0(VALU_DEP_2) | instskip(NEXT) | instid1(VALU_DEP_2)
	v_add_co_u32 v2, vcc_lo, v2, v5
	v_add_co_ci_u32_e32 v4, vcc_lo, v4, v8, vcc_lo
	s_delay_alu instid0(VALU_DEP_2) | instskip(SKIP_1) | instid1(VALU_DEP_3)
	v_mul_hi_u32 v5, s0, v2
	v_mul_lo_u32 v9, s2, v2
	v_mul_lo_u32 v8, s0, v4
	s_delay_alu instid0(VALU_DEP_1) | instskip(SKIP_1) | instid1(VALU_DEP_2)
	v_add_nc_u32_e32 v5, v5, v8
	v_mul_lo_u32 v8, s0, v2
	v_add_nc_u32_e32 v5, v5, v9
	s_delay_alu instid0(VALU_DEP_2) | instskip(NEXT) | instid1(VALU_DEP_2)
	v_mul_hi_u32 v9, v2, v8
	v_mul_lo_u32 v10, v2, v5
	v_mul_hi_u32 v11, v2, v5
	v_mul_hi_u32 v12, v4, v8
	v_mul_lo_u32 v8, v4, v8
	v_mul_hi_u32 v13, v4, v5
	v_mul_lo_u32 v5, v4, v5
	v_add_co_u32 v9, vcc_lo, v9, v10
	v_add_co_ci_u32_e32 v10, vcc_lo, 0, v11, vcc_lo
	s_delay_alu instid0(VALU_DEP_2) | instskip(NEXT) | instid1(VALU_DEP_2)
	v_add_co_u32 v8, vcc_lo, v9, v8
	v_add_co_ci_u32_e32 v8, vcc_lo, v10, v12, vcc_lo
	v_add_co_ci_u32_e32 v9, vcc_lo, 0, v13, vcc_lo
	s_delay_alu instid0(VALU_DEP_2) | instskip(NEXT) | instid1(VALU_DEP_2)
	v_add_co_u32 v5, vcc_lo, v8, v5
	v_add_co_ci_u32_e32 v8, vcc_lo, 0, v9, vcc_lo
	s_delay_alu instid0(VALU_DEP_2) | instskip(NEXT) | instid1(VALU_DEP_2)
	v_add_co_u32 v2, vcc_lo, v2, v5
	v_add_co_ci_u32_e32 v12, vcc_lo, v4, v8, vcc_lo
	s_delay_alu instid0(VALU_DEP_2) | instskip(SKIP_1) | instid1(VALU_DEP_3)
	v_mul_hi_u32 v13, v7, v2
	v_mad_u64_u32 v[8:9], null, v3, v2, 0
	v_mad_u64_u32 v[4:5], null, v7, v12, 0
	;; [unrolled: 1-line block ×3, first 2 shown]
	s_delay_alu instid0(VALU_DEP_2) | instskip(NEXT) | instid1(VALU_DEP_3)
	v_add_co_u32 v2, vcc_lo, v13, v4
	v_add_co_ci_u32_e32 v4, vcc_lo, 0, v5, vcc_lo
	s_delay_alu instid0(VALU_DEP_2) | instskip(NEXT) | instid1(VALU_DEP_2)
	v_add_co_u32 v2, vcc_lo, v2, v8
	v_add_co_ci_u32_e32 v2, vcc_lo, v4, v9, vcc_lo
	v_add_co_ci_u32_e32 v4, vcc_lo, 0, v11, vcc_lo
	s_delay_alu instid0(VALU_DEP_2) | instskip(NEXT) | instid1(VALU_DEP_2)
	v_add_co_u32 v10, vcc_lo, v2, v10
	v_add_co_ci_u32_e32 v11, vcc_lo, 0, v4, vcc_lo
	s_delay_alu instid0(VALU_DEP_2) | instskip(NEXT) | instid1(VALU_DEP_1)
	v_mad_u64_u32 v[4:5], null, s3, v10, 0
	v_mov_b32_e32 v2, v5
	s_delay_alu instid0(VALU_DEP_1) | instskip(NEXT) | instid1(VALU_DEP_3)
	v_mad_u64_u32 v[8:9], null, s3, v11, v[2:3]
	v_sub_co_u32 v2, vcc_lo, v7, v4
	s_delay_alu instid0(VALU_DEP_2) | instskip(NEXT) | instid1(VALU_DEP_2)
	v_sub_co_ci_u32_e32 v3, vcc_lo, v3, v8, vcc_lo
	v_sub_co_u32 v4, vcc_lo, v2, s3
	s_delay_alu instid0(VALU_DEP_2) | instskip(NEXT) | instid1(VALU_DEP_2)
	v_subrev_co_ci_u32_e32 v5, vcc_lo, 0, v3, vcc_lo
	v_cmp_le_u32_e32 vcc_lo, s3, v4
	v_cmp_eq_u32_e64 s0, 0, v3
	v_cndmask_b32_e64 v4, 0, -1, vcc_lo
	v_add_co_u32 v7, vcc_lo, v10, 2
	v_add_co_ci_u32_e32 v8, vcc_lo, 0, v11, vcc_lo
	v_cmp_le_u32_e32 vcc_lo, s3, v2
	v_cndmask_b32_e64 v2, 0, -1, vcc_lo
	v_cmp_eq_u32_e32 vcc_lo, 0, v5
	s_delay_alu instid0(VALU_DEP_2) | instskip(SKIP_3) | instid1(VALU_DEP_3)
	v_cndmask_b32_e64 v2, -1, v2, s0
	v_cndmask_b32_e32 v4, -1, v4, vcc_lo
	v_add_co_u32 v5, vcc_lo, v10, 1
	v_add_co_ci_u32_e32 v9, vcc_lo, 0, v11, vcc_lo
	v_cmp_ne_u32_e32 vcc_lo, 0, v4
	s_delay_alu instid0(VALU_DEP_2) | instskip(NEXT) | instid1(VALU_DEP_4)
	v_cndmask_b32_e32 v3, v9, v8, vcc_lo
	v_cndmask_b32_e32 v4, v5, v7, vcc_lo
	v_cmp_ne_u32_e32 vcc_lo, 0, v2
                                        ; implicit-def: $vgpr7
	s_delay_alu instid0(VALU_DEP_2)
	v_dual_cndmask_b32 v5, v11, v3 :: v_dual_cndmask_b32 v4, v10, v4
.LBB1_3:
	s_and_not1_saveexec_b32 s0, s1
	s_cbranch_execz .LBB1_5
; %bb.4:
	v_cvt_f32_u32_e32 v2, s3
	s_sub_i32 s1, 0, s3
	s_delay_alu instid0(VALU_DEP_1) | instskip(SKIP_2) | instid1(VALU_DEP_1)
	v_rcp_iflag_f32_e32 v2, v2
	s_waitcnt_depctr 0xfff
	v_mul_f32_e32 v2, 0x4f7ffffe, v2
	v_cvt_u32_f32_e32 v2, v2
	s_delay_alu instid0(VALU_DEP_1) | instskip(NEXT) | instid1(VALU_DEP_1)
	v_mul_lo_u32 v3, s1, v2
	v_mul_hi_u32 v3, v2, v3
	s_delay_alu instid0(VALU_DEP_1) | instskip(NEXT) | instid1(VALU_DEP_1)
	v_add_nc_u32_e32 v2, v2, v3
	v_mul_hi_u32 v2, v7, v2
	s_delay_alu instid0(VALU_DEP_1) | instskip(SKIP_1) | instid1(VALU_DEP_2)
	v_mul_lo_u32 v3, v2, s3
	v_add_nc_u32_e32 v4, 1, v2
	v_sub_nc_u32_e32 v3, v7, v3
	s_delay_alu instid0(VALU_DEP_1) | instskip(SKIP_1) | instid1(VALU_DEP_2)
	v_subrev_nc_u32_e32 v5, s3, v3
	v_cmp_le_u32_e32 vcc_lo, s3, v3
	v_cndmask_b32_e32 v3, v3, v5, vcc_lo
	v_dual_mov_b32 v5, 0 :: v_dual_cndmask_b32 v2, v2, v4
	s_delay_alu instid0(VALU_DEP_2) | instskip(NEXT) | instid1(VALU_DEP_2)
	v_cmp_le_u32_e32 vcc_lo, s3, v3
	v_add_nc_u32_e32 v4, 1, v2
	s_delay_alu instid0(VALU_DEP_1)
	v_cndmask_b32_e32 v4, v2, v4, vcc_lo
.LBB1_5:
	s_or_b32 exec_lo, exec_lo, s0
	s_delay_alu instid0(VALU_DEP_1) | instskip(SKIP_3) | instid1(VALU_DEP_2)
	v_add_co_u32 v2, vcc_lo, v4, v6
	v_add_co_ci_u32_e32 v3, vcc_lo, 0, v5, vcc_lo
	s_mul_i32 s0, s15, s9
	s_mul_hi_u32 s1, s15, s8
	v_add_co_u32 v2, vcc_lo, v2, 1
	s_mul_i32 s10, s15, s8
	s_add_i32 s11, s1, s0
	v_add_co_ci_u32_e32 v3, vcc_lo, 0, v3, vcc_lo
	s_lshl_b64 s[12:13], s[10:11], 2
	v_cmp_eq_u16_e64 s0, s3, 1
	s_add_u32 s1, s6, s12
	s_addc_u32 s2, s7, s13
	s_lshl_b64 s[6:7], s[8:9], 1
	v_cmp_lt_u64_e32 vcc_lo, 1, v[2:3]
	s_add_u32 s6, s1, s6
	s_addc_u32 s7, s2, s7
	s_lshl_b64 s[10:11], s[10:11], 1
	s_delay_alu instid0(SALU_CYCLE_1)
	s_add_u32 s4, s4, s10
	s_addc_u32 s5, s5, s11
	s_and_b32 s11, vcc_lo, s0
	s_mov_b32 s0, -1
	s_and_saveexec_b32 s10, s11
	s_cbranch_execz .LBB1_9
; %bb.6:
	v_dual_mov_b32 v5, v3 :: v_dual_and_b32 v4, -2, v2
	v_dual_mov_b32 v9, 0 :: v_dual_lshlrev_b32 v8, 1, v0
	s_mov_b32 s11, 0
	s_lshl_b32 s12, s3, 2
	s_delay_alu instid0(VALU_DEP_2)
	v_dual_mov_b32 v7, v5 :: v_dual_mov_b32 v6, v4
	s_mov_b32 s13, 0x3fb8aa3b
	s_mov_b32 s14, 0x32a5705f
.LBB1_7:                                ; =>This Inner Loop Header: Depth=1
	v_add_co_u32 v10, vcc_lo, s1, v8
	v_add_co_ci_u32_e32 v11, vcc_lo, s2, v9, vcc_lo
	global_load_b32 v12, v[10:11], off
	v_add_co_u32 v10, vcc_lo, s6, v8
	v_add_co_ci_u32_e32 v11, vcc_lo, s7, v9, vcc_lo
	global_load_b32 v13, v[10:11], off
	s_waitcnt vmcnt(1)
	v_lshrrev_b32_e32 v10, 16, v12
	v_cvt_f32_f16_e64 v11, -v12
	v_cvt_f32_f16_e32 v14, v12
	s_delay_alu instid0(VALU_DEP_3) | instskip(NEXT) | instid1(VALU_DEP_3)
	v_cvt_f32_f16_e64 v15, -v10
	v_cmp_ngt_f32_e32 vcc_lo, 0xc2ce8ed0, v11
	v_cvt_f32_f16_e32 v10, v10
	s_delay_alu instid0(VALU_DEP_3) | instskip(SKIP_1) | instid1(VALU_DEP_2)
	v_mul_f32_e32 v17, 0x3fb8aa3b, v15
	v_cmp_ngt_f32_e64 s0, 0xc2ce8ed0, v15
	v_rndne_f32_e32 v21, v17
	v_mul_f32_e32 v16, 0x3fb8aa3b, v11
	v_fma_mix_f32 v20, -v12, s13, -v17 op_sel:[1,0,0] op_sel_hi:[1,0,0]
	s_delay_alu instid0(VALU_DEP_3) | instskip(NEXT) | instid1(VALU_DEP_3)
	v_sub_f32_e32 v17, v17, v21
	v_fma_mix_f32 v18, -v12, s13, -v16 op_sel_hi:[1,0,0]
	v_rndne_f32_e32 v19, v16
	s_delay_alu instid0(VALU_DEP_2) | instskip(NEXT) | instid1(VALU_DEP_2)
	v_fma_mix_f32 v18, -v12, s14, v18 op_sel_hi:[1,0,0]
	v_sub_f32_e32 v16, v16, v19
	v_fma_mix_f32 v12, -v12, s14, v20 op_sel:[1,0,0] op_sel_hi:[1,0,0]
	v_cvt_i32_f32_e32 v19, v19
	s_delay_alu instid0(VALU_DEP_3) | instskip(NEXT) | instid1(VALU_DEP_3)
	v_add_f32_e32 v16, v16, v18
	v_add_f32_e32 v12, v17, v12
	v_cvt_i32_f32_e32 v18, v21
	s_delay_alu instid0(VALU_DEP_3) | instskip(NEXT) | instid1(VALU_DEP_2)
	v_exp_f32_e32 v16, v16
	v_exp_f32_e32 v12, v12
	s_waitcnt_depctr 0xfff
	v_ldexp_f32 v16, v16, v19
	v_ldexp_f32 v12, v12, v18
	s_delay_alu instid0(VALU_DEP_2) | instskip(SKIP_1) | instid1(VALU_DEP_3)
	v_cndmask_b32_e32 v16, 0, v16, vcc_lo
	v_cmp_nlt_f32_e32 vcc_lo, 0x42b17218, v11
	v_cndmask_b32_e64 v11, 0, v12, s0
	s_delay_alu instid0(VALU_DEP_3) | instskip(SKIP_1) | instid1(VALU_DEP_2)
	v_cndmask_b32_e32 v12, 0x7f800000, v16, vcc_lo
	v_cmp_nlt_f32_e32 vcc_lo, 0x42b17218, v15
	v_dual_add_f32 v12, 1.0, v12 :: v_dual_cndmask_b32 v11, 0x7f800000, v11
	s_delay_alu instid0(VALU_DEP_1) | instskip(NEXT) | instid1(VALU_DEP_2)
	v_div_scale_f32 v15, null, v12, v12, v14
	v_add_f32_e32 v11, 1.0, v11
	v_div_scale_f32 v16, s0, v14, v12, v14
	s_delay_alu instid0(VALU_DEP_3) | instskip(NEXT) | instid1(VALU_DEP_2)
	v_rcp_f32_e32 v19, v15
	v_div_scale_f32 v17, null, v11, v11, v10
	v_div_scale_f32 v20, vcc_lo, v10, v11, v10
	s_delay_alu instid0(VALU_DEP_2) | instskip(SKIP_2) | instid1(VALU_DEP_1)
	v_rcp_f32_e32 v18, v17
	s_waitcnt_depctr 0xfff
	v_fma_f32 v21, -v15, v19, 1.0
	v_fmac_f32_e32 v19, v21, v19
	v_fma_f32 v22, -v17, v18, 1.0
	s_delay_alu instid0(VALU_DEP_2) | instskip(NEXT) | instid1(VALU_DEP_1)
	v_mul_f32_e32 v21, v16, v19
	v_fma_f32 v23, -v15, v21, v16
	s_delay_alu instid0(VALU_DEP_1) | instskip(NEXT) | instid1(VALU_DEP_1)
	v_dual_fmac_f32 v18, v22, v18 :: v_dual_fmac_f32 v21, v23, v19
	v_mul_f32_e32 v22, v20, v18
	s_delay_alu instid0(VALU_DEP_2) | instskip(NEXT) | instid1(VALU_DEP_2)
	v_fma_f32 v15, -v15, v21, v16
	v_fma_f32 v24, -v17, v22, v20
	s_delay_alu instid0(VALU_DEP_1) | instskip(NEXT) | instid1(VALU_DEP_1)
	v_fmac_f32_e32 v22, v24, v18
	v_fma_f32 v16, -v17, v22, v20
	s_delay_alu instid0(VALU_DEP_1) | instskip(SKIP_3) | instid1(VALU_DEP_3)
	v_div_fmas_f32 v16, v16, v18, v22
	s_mov_b32 vcc_lo, s0
	v_div_fmas_f32 v15, v15, v19, v21
	v_add_co_u32 v6, vcc_lo, v6, -2
	v_div_fixup_f32 v10, v16, v11, v10
	v_add_co_ci_u32_e32 v7, vcc_lo, -1, v7, vcc_lo
	s_delay_alu instid0(VALU_DEP_4) | instskip(NEXT) | instid1(VALU_DEP_3)
	v_div_fixup_f32 v11, v15, v12, v14
	v_cvt_f16_f32_e32 v12, v10
	v_add_co_u32 v10, vcc_lo, s4, v8
	s_delay_alu instid0(VALU_DEP_3) | instskip(SKIP_3) | instid1(VALU_DEP_4)
	v_cvt_f16_f32_e32 v14, v11
	v_add_co_ci_u32_e32 v11, vcc_lo, s5, v9, vcc_lo
	v_cmp_eq_u64_e32 vcc_lo, 0, v[6:7]
	v_add_co_u32 v8, s0, v8, s12
	v_pack_b32_f16 v12, v14, v12
	v_add_co_ci_u32_e64 v9, s0, 0, v9, s0
	s_or_b32 s11, vcc_lo, s11
	s_waitcnt vmcnt(0)
	s_delay_alu instid0(VALU_DEP_2)
	v_pk_mul_f16 v12, v13, v12
	global_store_b32 v[10:11], v12, off
	s_and_not1_b32 exec_lo, exec_lo, s11
	s_cbranch_execnz .LBB1_7
; %bb.8:
	s_or_b32 exec_lo, exec_lo, s11
	v_mad_u64_u32 v[6:7], null, v4, s3, v[0:1]
	v_cmp_ne_u64_e32 vcc_lo, v[2:3], v[4:5]
	s_or_not1_b32 s0, vcc_lo, exec_lo
	s_delay_alu instid0(VALU_DEP_2) | instskip(NEXT) | instid1(VALU_DEP_1)
	v_mov_b32_e32 v0, v7
	v_mad_u64_u32 v[7:8], null, v5, s3, v[0:1]
	s_delay_alu instid0(VALU_DEP_1)
	v_dual_mov_b32 v0, v6 :: v_dual_mov_b32 v1, v7
.LBB1_9:
	s_or_b32 exec_lo, exec_lo, s10
	s_delay_alu instid0(SALU_CYCLE_1)
	s_and_b32 exec_lo, exec_lo, s0
	s_cbranch_execz .LBB1_12
; %bb.10:
	s_delay_alu instid0(VALU_DEP_1)
	v_lshlrev_b64 v[2:3], 1, v[0:1]
	s_lshl_b32 s10, s3, 1
	s_mov_b32 s11, 0
	s_mov_b32 s12, 0x3fb8aa3b
	;; [unrolled: 1-line block ×3, first 2 shown]
.LBB1_11:                               ; =>This Inner Loop Header: Depth=1
	s_delay_alu instid0(VALU_DEP_1)
	v_add_co_u32 v4, vcc_lo, s1, v2
	v_add_co_ci_u32_e32 v5, vcc_lo, s2, v3, vcc_lo
	global_load_u16 v6, v[4:5], off
	v_add_co_u32 v4, vcc_lo, s6, v2
	v_add_co_ci_u32_e32 v5, vcc_lo, s7, v3, vcc_lo
	global_load_u16 v7, v[4:5], off
	s_waitcnt vmcnt(1)
	v_cvt_f32_f16_e64 v4, -v6
	s_delay_alu instid0(VALU_DEP_1) | instskip(SKIP_1) | instid1(VALU_DEP_2)
	v_mul_f32_e32 v5, 0x3fb8aa3b, v4
	v_cmp_ngt_f32_e32 vcc_lo, 0xc2ce8ed0, v4
	v_fma_mix_f32 v8, -v6, s12, -v5 op_sel_hi:[1,0,0]
	v_rndne_f32_e32 v9, v5
	s_delay_alu instid0(VALU_DEP_2) | instskip(NEXT) | instid1(VALU_DEP_2)
	v_fma_mix_f32 v8, -v6, s13, v8 op_sel_hi:[1,0,0]
	v_sub_f32_e32 v5, v5, v9
	s_delay_alu instid0(VALU_DEP_1) | instskip(SKIP_1) | instid1(VALU_DEP_2)
	v_add_f32_e32 v5, v5, v8
	v_cvt_i32_f32_e32 v8, v9
	v_exp_f32_e32 v5, v5
	s_waitcnt_depctr 0xfff
	v_ldexp_f32 v5, v5, v8
	s_delay_alu instid0(VALU_DEP_1) | instskip(SKIP_1) | instid1(VALU_DEP_2)
	v_cndmask_b32_e32 v5, 0, v5, vcc_lo
	v_cmp_nlt_f32_e32 vcc_lo, 0x42b17218, v4
	v_cndmask_b32_e32 v4, 0x7f800000, v5, vcc_lo
	v_cvt_f32_f16_e32 v5, v6
	s_delay_alu instid0(VALU_DEP_2) | instskip(NEXT) | instid1(VALU_DEP_1)
	v_add_f32_e32 v4, 1.0, v4
	v_div_scale_f32 v6, null, v4, v4, v5
	v_div_scale_f32 v10, vcc_lo, v5, v4, v5
	s_delay_alu instid0(VALU_DEP_2) | instskip(SKIP_2) | instid1(VALU_DEP_1)
	v_rcp_f32_e32 v8, v6
	s_waitcnt_depctr 0xfff
	v_fma_f32 v9, -v6, v8, 1.0
	v_fmac_f32_e32 v8, v9, v8
	s_delay_alu instid0(VALU_DEP_1) | instskip(NEXT) | instid1(VALU_DEP_1)
	v_mul_f32_e32 v9, v10, v8
	v_fma_f32 v11, -v6, v9, v10
	s_delay_alu instid0(VALU_DEP_1) | instskip(NEXT) | instid1(VALU_DEP_1)
	v_fmac_f32_e32 v9, v11, v8
	v_fma_f32 v6, -v6, v9, v10
	s_delay_alu instid0(VALU_DEP_1) | instskip(SKIP_2) | instid1(VALU_DEP_3)
	v_div_fmas_f32 v6, v6, v8, v9
	v_add_co_u32 v0, vcc_lo, v0, s3
	v_add_co_ci_u32_e32 v1, vcc_lo, 0, v1, vcc_lo
	v_div_fixup_f32 v6, v6, v4, v5
	v_add_co_u32 v4, vcc_lo, s4, v2
	v_add_co_ci_u32_e32 v5, vcc_lo, s5, v3, vcc_lo
	s_delay_alu instid0(VALU_DEP_3) | instskip(SKIP_2) | instid1(VALU_DEP_1)
	v_cvt_f16_f32_e32 v6, v6
	v_cmp_le_i64_e32 vcc_lo, s[8:9], v[0:1]
	v_add_co_u32 v2, s0, v2, s10
	v_add_co_ci_u32_e64 v3, s0, 0, v3, s0
	s_waitcnt vmcnt(0)
	v_mul_f16_e32 v6, v7, v6
	s_or_b32 s11, vcc_lo, s11
	global_store_b16 v[4:5], v6, off
	s_and_not1_b32 exec_lo, exec_lo, s11
	s_cbranch_execnz .LBB1_11
.LBB1_12:
	s_nop 0
	s_sendmsg sendmsg(MSG_DEALLOC_VGPRS)
	s_endpgm
	.section	.rodata,"a",@progbits
	.p2align	6, 0x0
	.amdhsa_kernel _ZN4vllm18act_and_mul_kernelIN3c104HalfETnPFT_RKS3_EXadL_ZNS_11silu_kernelIS2_EES3_S5_EELb1EEEvPS3_PS4_i
		.amdhsa_group_segment_fixed_size 0
		.amdhsa_private_segment_fixed_size 0
		.amdhsa_kernarg_size 280
		.amdhsa_user_sgpr_count 15
		.amdhsa_user_sgpr_dispatch_ptr 0
		.amdhsa_user_sgpr_queue_ptr 0
		.amdhsa_user_sgpr_kernarg_segment_ptr 1
		.amdhsa_user_sgpr_dispatch_id 0
		.amdhsa_user_sgpr_private_segment_size 0
		.amdhsa_wavefront_size32 1
		.amdhsa_uses_dynamic_stack 0
		.amdhsa_enable_private_segment 0
		.amdhsa_system_sgpr_workgroup_id_x 1
		.amdhsa_system_sgpr_workgroup_id_y 0
		.amdhsa_system_sgpr_workgroup_id_z 0
		.amdhsa_system_sgpr_workgroup_info 0
		.amdhsa_system_vgpr_workitem_id 0
		.amdhsa_next_free_vgpr 25
		.amdhsa_next_free_sgpr 16
		.amdhsa_reserve_vcc 1
		.amdhsa_float_round_mode_32 0
		.amdhsa_float_round_mode_16_64 0
		.amdhsa_float_denorm_mode_32 3
		.amdhsa_float_denorm_mode_16_64 3
		.amdhsa_dx10_clamp 1
		.amdhsa_ieee_mode 1
		.amdhsa_fp16_overflow 0
		.amdhsa_workgroup_processor_mode 1
		.amdhsa_memory_ordered 1
		.amdhsa_forward_progress 0
		.amdhsa_shared_vgpr_count 0
		.amdhsa_exception_fp_ieee_invalid_op 0
		.amdhsa_exception_fp_denorm_src 0
		.amdhsa_exception_fp_ieee_div_zero 0
		.amdhsa_exception_fp_ieee_overflow 0
		.amdhsa_exception_fp_ieee_underflow 0
		.amdhsa_exception_fp_ieee_inexact 0
		.amdhsa_exception_int_div_zero 0
	.end_amdhsa_kernel
	.section	.text._ZN4vllm18act_and_mul_kernelIN3c104HalfETnPFT_RKS3_EXadL_ZNS_11silu_kernelIS2_EES3_S5_EELb1EEEvPS3_PS4_i,"axG",@progbits,_ZN4vllm18act_and_mul_kernelIN3c104HalfETnPFT_RKS3_EXadL_ZNS_11silu_kernelIS2_EES3_S5_EELb1EEEvPS3_PS4_i,comdat
.Lfunc_end1:
	.size	_ZN4vllm18act_and_mul_kernelIN3c104HalfETnPFT_RKS3_EXadL_ZNS_11silu_kernelIS2_EES3_S5_EELb1EEEvPS3_PS4_i, .Lfunc_end1-_ZN4vllm18act_and_mul_kernelIN3c104HalfETnPFT_RKS3_EXadL_ZNS_11silu_kernelIS2_EES3_S5_EELb1EEEvPS3_PS4_i
                                        ; -- End function
	.section	.AMDGPU.csdata,"",@progbits
; Kernel info:
; codeLenInByte = 2184
; NumSgprs: 18
; NumVgprs: 25
; ScratchSize: 0
; MemoryBound: 0
; FloatMode: 240
; IeeeMode: 1
; LDSByteSize: 0 bytes/workgroup (compile time only)
; SGPRBlocks: 2
; VGPRBlocks: 3
; NumSGPRsForWavesPerEU: 18
; NumVGPRsForWavesPerEU: 25
; Occupancy: 16
; WaveLimiterHint : 0
; COMPUTE_PGM_RSRC2:SCRATCH_EN: 0
; COMPUTE_PGM_RSRC2:USER_SGPR: 15
; COMPUTE_PGM_RSRC2:TRAP_HANDLER: 0
; COMPUTE_PGM_RSRC2:TGID_X_EN: 1
; COMPUTE_PGM_RSRC2:TGID_Y_EN: 0
; COMPUTE_PGM_RSRC2:TGID_Z_EN: 0
; COMPUTE_PGM_RSRC2:TIDIG_COMP_CNT: 0
	.section	.text._ZN4vllm18act_and_mul_kernelIN3c108BFloat16ETnPFT_RKS3_EXadL_ZNS_11silu_kernelIS2_EES3_S5_EELb1EEEvPS3_PS4_i,"axG",@progbits,_ZN4vllm18act_and_mul_kernelIN3c108BFloat16ETnPFT_RKS3_EXadL_ZNS_11silu_kernelIS2_EES3_S5_EELb1EEEvPS3_PS4_i,comdat
	.protected	_ZN4vllm18act_and_mul_kernelIN3c108BFloat16ETnPFT_RKS3_EXadL_ZNS_11silu_kernelIS2_EES3_S5_EELb1EEEvPS3_PS4_i ; -- Begin function _ZN4vllm18act_and_mul_kernelIN3c108BFloat16ETnPFT_RKS3_EXadL_ZNS_11silu_kernelIS2_EES3_S5_EELb1EEEvPS3_PS4_i
	.globl	_ZN4vllm18act_and_mul_kernelIN3c108BFloat16ETnPFT_RKS3_EXadL_ZNS_11silu_kernelIS2_EES3_S5_EELb1EEEvPS3_PS4_i
	.p2align	8
	.type	_ZN4vllm18act_and_mul_kernelIN3c108BFloat16ETnPFT_RKS3_EXadL_ZNS_11silu_kernelIS2_EES3_S5_EELb1EEEvPS3_PS4_i,@function
_ZN4vllm18act_and_mul_kernelIN3c108BFloat16ETnPFT_RKS3_EXadL_ZNS_11silu_kernelIS2_EES3_S5_EELb1EEEvPS3_PS4_i: ; @_ZN4vllm18act_and_mul_kernelIN3c108BFloat16ETnPFT_RKS3_EXadL_ZNS_11silu_kernelIS2_EES3_S5_EELb1EEEvPS3_PS4_i
; %bb.0:
	s_load_b32 s8, s[0:1], 0x10
	s_mov_b32 s2, exec_lo
	s_waitcnt lgkmcnt(0)
	v_cmpx_gt_i32_e64 s8, v0
	s_cbranch_execz .LBB2_12
; %bb.1:
	s_clause 0x1
	s_load_b32 s2, s[0:1], 0x24
	s_load_b128 s[4:7], s[0:1], 0x0
	s_ashr_i32 s9, s8, 31
	s_mov_b32 s0, exec_lo
	s_waitcnt lgkmcnt(0)
	s_and_b32 s3, s2, 0xffff
	s_delay_alu instid0(SALU_CYCLE_1) | instskip(NEXT) | instid1(VALU_DEP_1)
	v_add_co_u32 v1, s2, v0, s3
	v_add_co_ci_u32_e64 v2, null, 0, 0, s2
	s_delay_alu instid0(VALU_DEP_1) | instskip(SKIP_1) | instid1(VALU_DEP_2)
	v_cmp_gt_i64_e64 s2, s[8:9], v[1:2]
	v_cmp_lt_i64_e32 vcc_lo, s[8:9], v[1:2]
	v_cndmask_b32_e64 v6, 0, 1, s2
	v_cndmask_b32_e32 v3, s9, v2, vcc_lo
	v_cndmask_b32_e32 v4, s8, v1, vcc_lo
	s_delay_alu instid0(VALU_DEP_3) | instskip(SKIP_2) | instid1(VALU_DEP_3)
	v_add_co_u32 v5, vcc_lo, v1, v6
	v_mov_b32_e32 v1, 0
	v_add_co_ci_u32_e32 v2, vcc_lo, 0, v2, vcc_lo
	v_sub_co_u32 v7, vcc_lo, v4, v5
                                        ; implicit-def: $vgpr4_vgpr5
	s_delay_alu instid0(VALU_DEP_2) | instskip(NEXT) | instid1(VALU_DEP_4)
	v_sub_co_ci_u32_e32 v3, vcc_lo, v3, v2, vcc_lo
	v_mov_b32_e32 v2, v1
	s_delay_alu instid0(VALU_DEP_1)
	v_cmpx_ne_u64_e32 0, v[2:3]
	s_xor_b32 s1, exec_lo, s0
	s_cbranch_execz .LBB2_3
; %bb.2:
	v_cvt_f32_u32_e32 v2, s3
	s_sub_u32 s0, 0, s3
	s_subb_u32 s2, 0, 0
	s_delay_alu instid0(VALU_DEP_1) | instskip(NEXT) | instid1(VALU_DEP_1)
	v_fmamk_f32 v2, 0, 0x4f800000, v2
	v_rcp_f32_e32 v2, v2
	s_waitcnt_depctr 0xfff
	v_mul_f32_e32 v2, 0x5f7ffffc, v2
	s_delay_alu instid0(VALU_DEP_1) | instskip(NEXT) | instid1(VALU_DEP_1)
	v_mul_f32_e32 v4, 0x2f800000, v2
	v_trunc_f32_e32 v4, v4
	s_delay_alu instid0(VALU_DEP_1) | instskip(SKIP_1) | instid1(VALU_DEP_2)
	v_fmamk_f32 v2, v4, 0xcf800000, v2
	v_cvt_u32_f32_e32 v4, v4
	v_cvt_u32_f32_e32 v2, v2
	s_delay_alu instid0(VALU_DEP_2) | instskip(NEXT) | instid1(VALU_DEP_2)
	v_mul_lo_u32 v5, s0, v4
	v_mul_hi_u32 v8, s0, v2
	v_mul_lo_u32 v9, s2, v2
	s_delay_alu instid0(VALU_DEP_2) | instskip(SKIP_1) | instid1(VALU_DEP_2)
	v_add_nc_u32_e32 v5, v8, v5
	v_mul_lo_u32 v8, s0, v2
	v_add_nc_u32_e32 v5, v5, v9
	s_delay_alu instid0(VALU_DEP_2) | instskip(NEXT) | instid1(VALU_DEP_2)
	v_mul_hi_u32 v9, v2, v8
	v_mul_lo_u32 v10, v2, v5
	v_mul_hi_u32 v11, v2, v5
	v_mul_hi_u32 v12, v4, v8
	v_mul_lo_u32 v8, v4, v8
	v_mul_hi_u32 v13, v4, v5
	v_mul_lo_u32 v5, v4, v5
	v_add_co_u32 v9, vcc_lo, v9, v10
	v_add_co_ci_u32_e32 v10, vcc_lo, 0, v11, vcc_lo
	s_delay_alu instid0(VALU_DEP_2) | instskip(NEXT) | instid1(VALU_DEP_2)
	v_add_co_u32 v8, vcc_lo, v9, v8
	v_add_co_ci_u32_e32 v8, vcc_lo, v10, v12, vcc_lo
	v_add_co_ci_u32_e32 v9, vcc_lo, 0, v13, vcc_lo
	s_delay_alu instid0(VALU_DEP_2) | instskip(NEXT) | instid1(VALU_DEP_2)
	v_add_co_u32 v5, vcc_lo, v8, v5
	v_add_co_ci_u32_e32 v8, vcc_lo, 0, v9, vcc_lo
	s_delay_alu instid0(VALU_DEP_2) | instskip(NEXT) | instid1(VALU_DEP_2)
	v_add_co_u32 v2, vcc_lo, v2, v5
	v_add_co_ci_u32_e32 v4, vcc_lo, v4, v8, vcc_lo
	s_delay_alu instid0(VALU_DEP_2) | instskip(SKIP_1) | instid1(VALU_DEP_3)
	v_mul_hi_u32 v5, s0, v2
	v_mul_lo_u32 v9, s2, v2
	v_mul_lo_u32 v8, s0, v4
	s_delay_alu instid0(VALU_DEP_1) | instskip(SKIP_1) | instid1(VALU_DEP_2)
	v_add_nc_u32_e32 v5, v5, v8
	v_mul_lo_u32 v8, s0, v2
	v_add_nc_u32_e32 v5, v5, v9
	s_delay_alu instid0(VALU_DEP_2) | instskip(NEXT) | instid1(VALU_DEP_2)
	v_mul_hi_u32 v9, v2, v8
	v_mul_lo_u32 v10, v2, v5
	v_mul_hi_u32 v11, v2, v5
	v_mul_hi_u32 v12, v4, v8
	v_mul_lo_u32 v8, v4, v8
	v_mul_hi_u32 v13, v4, v5
	v_mul_lo_u32 v5, v4, v5
	v_add_co_u32 v9, vcc_lo, v9, v10
	v_add_co_ci_u32_e32 v10, vcc_lo, 0, v11, vcc_lo
	s_delay_alu instid0(VALU_DEP_2) | instskip(NEXT) | instid1(VALU_DEP_2)
	v_add_co_u32 v8, vcc_lo, v9, v8
	v_add_co_ci_u32_e32 v8, vcc_lo, v10, v12, vcc_lo
	v_add_co_ci_u32_e32 v9, vcc_lo, 0, v13, vcc_lo
	s_delay_alu instid0(VALU_DEP_2) | instskip(NEXT) | instid1(VALU_DEP_2)
	v_add_co_u32 v5, vcc_lo, v8, v5
	v_add_co_ci_u32_e32 v8, vcc_lo, 0, v9, vcc_lo
	s_delay_alu instid0(VALU_DEP_2) | instskip(NEXT) | instid1(VALU_DEP_2)
	v_add_co_u32 v2, vcc_lo, v2, v5
	v_add_co_ci_u32_e32 v12, vcc_lo, v4, v8, vcc_lo
	s_delay_alu instid0(VALU_DEP_2) | instskip(SKIP_1) | instid1(VALU_DEP_3)
	v_mul_hi_u32 v13, v7, v2
	v_mad_u64_u32 v[8:9], null, v3, v2, 0
	v_mad_u64_u32 v[4:5], null, v7, v12, 0
	;; [unrolled: 1-line block ×3, first 2 shown]
	s_delay_alu instid0(VALU_DEP_2) | instskip(NEXT) | instid1(VALU_DEP_3)
	v_add_co_u32 v2, vcc_lo, v13, v4
	v_add_co_ci_u32_e32 v4, vcc_lo, 0, v5, vcc_lo
	s_delay_alu instid0(VALU_DEP_2) | instskip(NEXT) | instid1(VALU_DEP_2)
	v_add_co_u32 v2, vcc_lo, v2, v8
	v_add_co_ci_u32_e32 v2, vcc_lo, v4, v9, vcc_lo
	v_add_co_ci_u32_e32 v4, vcc_lo, 0, v11, vcc_lo
	s_delay_alu instid0(VALU_DEP_2) | instskip(NEXT) | instid1(VALU_DEP_2)
	v_add_co_u32 v10, vcc_lo, v2, v10
	v_add_co_ci_u32_e32 v11, vcc_lo, 0, v4, vcc_lo
	s_delay_alu instid0(VALU_DEP_2) | instskip(NEXT) | instid1(VALU_DEP_1)
	v_mad_u64_u32 v[4:5], null, s3, v10, 0
	v_mov_b32_e32 v2, v5
	s_delay_alu instid0(VALU_DEP_1) | instskip(NEXT) | instid1(VALU_DEP_3)
	v_mad_u64_u32 v[8:9], null, s3, v11, v[2:3]
	v_sub_co_u32 v2, vcc_lo, v7, v4
	s_delay_alu instid0(VALU_DEP_2) | instskip(NEXT) | instid1(VALU_DEP_2)
	v_sub_co_ci_u32_e32 v3, vcc_lo, v3, v8, vcc_lo
	v_sub_co_u32 v4, vcc_lo, v2, s3
	s_delay_alu instid0(VALU_DEP_2) | instskip(NEXT) | instid1(VALU_DEP_2)
	v_subrev_co_ci_u32_e32 v5, vcc_lo, 0, v3, vcc_lo
	v_cmp_le_u32_e32 vcc_lo, s3, v4
	v_cmp_eq_u32_e64 s0, 0, v3
	v_cndmask_b32_e64 v4, 0, -1, vcc_lo
	v_add_co_u32 v7, vcc_lo, v10, 2
	v_add_co_ci_u32_e32 v8, vcc_lo, 0, v11, vcc_lo
	v_cmp_le_u32_e32 vcc_lo, s3, v2
	v_cndmask_b32_e64 v2, 0, -1, vcc_lo
	v_cmp_eq_u32_e32 vcc_lo, 0, v5
	s_delay_alu instid0(VALU_DEP_2) | instskip(SKIP_3) | instid1(VALU_DEP_3)
	v_cndmask_b32_e64 v2, -1, v2, s0
	v_cndmask_b32_e32 v4, -1, v4, vcc_lo
	v_add_co_u32 v5, vcc_lo, v10, 1
	v_add_co_ci_u32_e32 v9, vcc_lo, 0, v11, vcc_lo
	v_cmp_ne_u32_e32 vcc_lo, 0, v4
	s_delay_alu instid0(VALU_DEP_2) | instskip(NEXT) | instid1(VALU_DEP_4)
	v_cndmask_b32_e32 v3, v9, v8, vcc_lo
	v_cndmask_b32_e32 v4, v5, v7, vcc_lo
	v_cmp_ne_u32_e32 vcc_lo, 0, v2
                                        ; implicit-def: $vgpr7
	s_delay_alu instid0(VALU_DEP_2)
	v_dual_cndmask_b32 v5, v11, v3 :: v_dual_cndmask_b32 v4, v10, v4
.LBB2_3:
	s_and_not1_saveexec_b32 s0, s1
	s_cbranch_execz .LBB2_5
; %bb.4:
	v_cvt_f32_u32_e32 v2, s3
	s_sub_i32 s1, 0, s3
	s_delay_alu instid0(VALU_DEP_1) | instskip(SKIP_2) | instid1(VALU_DEP_1)
	v_rcp_iflag_f32_e32 v2, v2
	s_waitcnt_depctr 0xfff
	v_mul_f32_e32 v2, 0x4f7ffffe, v2
	v_cvt_u32_f32_e32 v2, v2
	s_delay_alu instid0(VALU_DEP_1) | instskip(NEXT) | instid1(VALU_DEP_1)
	v_mul_lo_u32 v3, s1, v2
	v_mul_hi_u32 v3, v2, v3
	s_delay_alu instid0(VALU_DEP_1) | instskip(NEXT) | instid1(VALU_DEP_1)
	v_add_nc_u32_e32 v2, v2, v3
	v_mul_hi_u32 v2, v7, v2
	s_delay_alu instid0(VALU_DEP_1) | instskip(SKIP_1) | instid1(VALU_DEP_2)
	v_mul_lo_u32 v3, v2, s3
	v_add_nc_u32_e32 v4, 1, v2
	v_sub_nc_u32_e32 v3, v7, v3
	s_delay_alu instid0(VALU_DEP_1) | instskip(SKIP_1) | instid1(VALU_DEP_2)
	v_subrev_nc_u32_e32 v5, s3, v3
	v_cmp_le_u32_e32 vcc_lo, s3, v3
	v_cndmask_b32_e32 v3, v3, v5, vcc_lo
	v_dual_mov_b32 v5, 0 :: v_dual_cndmask_b32 v2, v2, v4
	s_delay_alu instid0(VALU_DEP_2) | instskip(NEXT) | instid1(VALU_DEP_2)
	v_cmp_le_u32_e32 vcc_lo, s3, v3
	v_add_nc_u32_e32 v4, 1, v2
	s_delay_alu instid0(VALU_DEP_1)
	v_cndmask_b32_e32 v4, v2, v4, vcc_lo
.LBB2_5:
	s_or_b32 exec_lo, exec_lo, s0
	s_delay_alu instid0(VALU_DEP_1)
	v_add_co_u32 v2, vcc_lo, v4, v6
	v_add_co_ci_u32_e32 v3, vcc_lo, 0, v5, vcc_lo
	s_mul_i32 s1, s15, s9
	s_mul_hi_u32 s2, s15, s8
	s_mul_i32 s0, s15, s8
	s_add_i32 s1, s2, s1
	v_add_co_u32 v2, vcc_lo, v2, 1
	s_lshl_b64 s[10:11], s[0:1], 2
	v_add_co_ci_u32_e32 v3, vcc_lo, 0, v3, vcc_lo
	s_add_u32 s2, s6, s10
	s_addc_u32 s6, s7, s11
	s_lshl_b64 s[10:11], s[8:9], 1
	s_delay_alu instid0(VALU_DEP_1) | instskip(SKIP_4) | instid1(SALU_CYCLE_1)
	v_cmp_lt_u64_e32 vcc_lo, 1, v[2:3]
	s_add_u32 s7, s2, s10
	s_addc_u32 s10, s6, s11
	v_cmp_eq_u16_e64 s11, s3, 1
	s_lshl_b64 s[0:1], s[0:1], 1
	s_add_u32 s4, s4, s0
	s_addc_u32 s5, s5, s1
	s_delay_alu instid0(VALU_DEP_1)
	s_and_b32 s11, vcc_lo, s11
	s_mov_b32 s0, -1
	s_and_saveexec_b32 s1, s11
	s_cbranch_execz .LBB2_9
; %bb.6:
	v_dual_mov_b32 v5, v3 :: v_dual_and_b32 v4, -2, v2
	v_dual_mov_b32 v9, 0 :: v_dual_lshlrev_b32 v8, 1, v0
	s_mov_b32 s11, 0
	s_lshl_b32 s12, s3, 2
	s_delay_alu instid0(VALU_DEP_2)
	v_dual_mov_b32 v7, v5 :: v_dual_mov_b32 v6, v4
.LBB2_7:                                ; =>This Inner Loop Header: Depth=1
	s_delay_alu instid0(VALU_DEP_2)
	v_add_co_u32 v10, vcc_lo, s2, v8
	v_add_co_ci_u32_e32 v11, vcc_lo, s6, v9, vcc_lo
	global_load_b32 v12, v[10:11], off
	v_add_co_u32 v10, vcc_lo, s7, v8
	v_add_co_ci_u32_e32 v11, vcc_lo, s10, v9, vcc_lo
	global_load_b32 v10, v[10:11], off
	s_waitcnt vmcnt(1)
	v_and_b32_e32 v11, 0xffff0000, v12
	v_lshlrev_b32_e32 v12, 16, v12
	s_delay_alu instid0(VALU_DEP_1) | instskip(SKIP_1) | instid1(VALU_DEP_2)
	v_xor_b32_e32 v14, 0x80000000, v12
	v_cmp_o_f32_e32 vcc_lo, v12, v12
	v_bfe_u32 v16, v14, 16, 1
	s_delay_alu instid0(VALU_DEP_1) | instskip(NEXT) | instid1(VALU_DEP_1)
	v_add3_u32 v14, v14, v16, 0x7fff
	v_and_b32_e32 v14, 0xffff0000, v14
	s_delay_alu instid0(VALU_DEP_1) | instskip(NEXT) | instid1(VALU_DEP_1)
	v_cndmask_b32_e32 v14, 0x7fc00000, v14, vcc_lo
	v_mul_f32_e32 v16, 0x3fb8aa3b, v14
	v_cmp_ngt_f32_e32 vcc_lo, 0xc2ce8ed0, v14
	s_delay_alu instid0(VALU_DEP_2) | instskip(SKIP_1) | instid1(VALU_DEP_1)
	v_fma_f32 v19, 0x3fb8aa3b, v14, -v16
	v_rndne_f32_e32 v20, v16
	v_dual_fmac_f32 v19, 0x32a5705f, v14 :: v_dual_sub_f32 v16, v16, v20
	s_delay_alu instid0(VALU_DEP_1) | instskip(SKIP_2) | instid1(VALU_DEP_3)
	v_add_f32_e32 v16, v16, v19
	v_xor_b32_e32 v13, 0x80000000, v11
	v_cmp_o_f32_e64 s0, v11, v11
	v_exp_f32_e32 v16, v16
	s_delay_alu instid0(VALU_DEP_2) | instskip(NEXT) | instid1(VALU_DEP_1)
	v_bfe_u32 v15, v13, 16, 1
	v_add3_u32 v13, v13, v15, 0x7fff
	s_delay_alu instid0(VALU_DEP_1) | instskip(NEXT) | instid1(VALU_DEP_1)
	v_and_b32_e32 v13, 0xffff0000, v13
	v_cndmask_b32_e64 v13, 0x7fc00000, v13, s0
	s_delay_alu instid0(VALU_DEP_1) | instskip(SKIP_1) | instid1(VALU_DEP_2)
	v_mul_f32_e32 v15, 0x3fb8aa3b, v13
	v_cmp_ngt_f32_e64 s0, 0xc2ce8ed0, v13
	v_fma_f32 v17, 0x3fb8aa3b, v13, -v15
	v_rndne_f32_e32 v18, v15
	s_delay_alu instid0(VALU_DEP_2) | instskip(NEXT) | instid1(VALU_DEP_2)
	v_fmac_f32_e32 v17, 0x32a5705f, v13
	v_sub_f32_e32 v15, v15, v18
	s_delay_alu instid0(VALU_DEP_1) | instskip(SKIP_2) | instid1(VALU_DEP_3)
	v_add_f32_e32 v15, v15, v17
	v_cvt_i32_f32_e32 v17, v18
	v_cvt_i32_f32_e32 v18, v20
	v_exp_f32_e32 v15, v15
	s_delay_alu instid0(VALU_DEP_1) | instskip(NEXT) | instid1(VALU_DEP_1)
	v_ldexp_f32 v16, v16, v18
	v_cndmask_b32_e32 v16, 0, v16, vcc_lo
	s_waitcnt_depctr 0xfff
	v_ldexp_f32 v15, v15, v17
	s_delay_alu instid0(VALU_DEP_1) | instskip(SKIP_1) | instid1(VALU_DEP_1)
	v_cndmask_b32_e64 v15, 0, v15, s0
	v_cmp_nlt_f32_e64 s0, 0x42b17218, v13
	v_cndmask_b32_e64 v13, 0x7f800000, v15, s0
	s_delay_alu instid0(VALU_DEP_1) | instskip(SKIP_1) | instid1(VALU_DEP_2)
	v_add_f32_e32 v13, 1.0, v13
	v_cmp_nlt_f32_e32 vcc_lo, 0x42b17218, v14
	v_div_scale_f32 v15, null, v13, v13, v11
	v_cndmask_b32_e32 v14, 0x7f800000, v16, vcc_lo
	v_div_scale_f32 v19, vcc_lo, v11, v13, v11
	s_delay_alu instid0(VALU_DEP_3) | instskip(NEXT) | instid1(VALU_DEP_2)
	v_rcp_f32_e32 v17, v15
	v_add_f32_e32 v14, 1.0, v14
	s_delay_alu instid0(VALU_DEP_1) | instskip(SKIP_4) | instid1(VALU_DEP_1)
	v_div_scale_f32 v16, null, v14, v14, v12
	v_div_scale_f32 v20, s0, v12, v14, v12
	s_waitcnt_depctr 0xfff
	v_fma_f32 v21, -v15, v17, 1.0
	v_rcp_f32_e32 v18, v16
	v_fmac_f32_e32 v17, v21, v17
	s_delay_alu instid0(VALU_DEP_1) | instskip(SKIP_3) | instid1(VALU_DEP_1)
	v_mul_f32_e32 v21, v19, v17
	s_waitcnt_depctr 0xfff
	v_fma_f32 v22, -v16, v18, 1.0
	v_fma_f32 v23, -v15, v21, v19
	v_dual_fmac_f32 v18, v22, v18 :: v_dual_fmac_f32 v21, v23, v17
	s_delay_alu instid0(VALU_DEP_1) | instskip(NEXT) | instid1(VALU_DEP_2)
	v_mul_f32_e32 v22, v20, v18
	v_fma_f32 v15, -v15, v21, v19
	s_delay_alu instid0(VALU_DEP_2) | instskip(NEXT) | instid1(VALU_DEP_2)
	v_fma_f32 v24, -v16, v22, v20
	v_div_fmas_f32 v15, v15, v17, v21
	s_mov_b32 vcc_lo, s0
	s_delay_alu instid0(VALU_DEP_1) | instskip(SKIP_3) | instid1(VALU_DEP_3)
	v_div_fixup_f32 v11, v15, v13, v11
	s_waitcnt vmcnt(0)
	v_and_b32_e32 v15, 0xffff0000, v10
	v_fmac_f32_e32 v22, v24, v18
	v_bfe_u32 v13, v11, 16, 1
	s_delay_alu instid0(VALU_DEP_2) | instskip(NEXT) | instid1(VALU_DEP_2)
	v_fma_f32 v16, -v16, v22, v20
	v_add3_u32 v13, v11, v13, 0x7fff
	s_delay_alu instid0(VALU_DEP_2) | instskip(SKIP_1) | instid1(VALU_DEP_2)
	v_div_fmas_f32 v16, v16, v18, v22
	v_cmp_o_f32_e32 vcc_lo, v11, v11
	v_div_fixup_f32 v12, v16, v14, v12
	v_lshlrev_b32_e32 v16, 16, v10
	v_and_b32_e32 v10, 0xffff0000, v13
	s_delay_alu instid0(VALU_DEP_3) | instskip(SKIP_1) | instid1(VALU_DEP_3)
	v_bfe_u32 v14, v12, 16, 1
	v_cmp_o_f32_e64 s0, v12, v12
	v_cndmask_b32_e32 v11, 0x7fc00000, v10, vcc_lo
	v_add_co_u32 v10, vcc_lo, s4, v8
	s_delay_alu instid0(VALU_DEP_4) | instskip(NEXT) | instid1(VALU_DEP_1)
	v_add3_u32 v14, v12, v14, 0x7fff
	v_and_b32_e32 v13, 0xffff0000, v14
	s_delay_alu instid0(VALU_DEP_1) | instskip(NEXT) | instid1(VALU_DEP_1)
	v_cndmask_b32_e64 v12, 0x7fc00000, v13, s0
	v_dual_mul_f32 v12, v12, v16 :: v_dual_mul_f32 v13, v11, v15
	v_add_co_ci_u32_e32 v11, vcc_lo, s5, v9, vcc_lo
	v_add_co_u32 v6, vcc_lo, v6, -2
	s_delay_alu instid0(VALU_DEP_3) | instskip(NEXT) | instid1(VALU_DEP_4)
	v_bfe_u32 v14, v13, 16, 1
	v_bfe_u32 v15, v12, 16, 1
	v_add_co_ci_u32_e32 v7, vcc_lo, -1, v7, vcc_lo
	v_cmp_o_f32_e32 vcc_lo, v13, v13
	s_delay_alu instid0(VALU_DEP_4) | instskip(NEXT) | instid1(VALU_DEP_4)
	v_add3_u32 v14, v13, v14, 0x7fff
	v_add3_u32 v15, v12, v15, 0x7fff
	v_cmp_o_f32_e64 s0, v12, v12
	s_delay_alu instid0(VALU_DEP_3) | instskip(NEXT) | instid1(VALU_DEP_3)
	v_lshrrev_b32_e32 v14, 16, v14
	v_lshrrev_b32_e32 v15, 16, v15
	s_delay_alu instid0(VALU_DEP_2) | instskip(NEXT) | instid1(VALU_DEP_2)
	v_cndmask_b32_e32 v12, 0x7fc0, v14, vcc_lo
	v_cndmask_b32_e64 v13, 0x7fc0, v15, s0
	v_cmp_eq_u64_e32 vcc_lo, 0, v[6:7]
	v_add_co_u32 v8, s0, v8, s12
	s_delay_alu instid0(VALU_DEP_1) | instskip(NEXT) | instid1(VALU_DEP_4)
	v_add_co_ci_u32_e64 v9, s0, 0, v9, s0
	v_perm_b32 v12, v12, v13, 0x5040100
	s_or_b32 s11, vcc_lo, s11
	global_store_b32 v[10:11], v12, off
	s_and_not1_b32 exec_lo, exec_lo, s11
	s_cbranch_execnz .LBB2_7
; %bb.8:
	s_or_b32 exec_lo, exec_lo, s11
	v_mad_u64_u32 v[6:7], null, v4, s3, v[0:1]
	v_cmp_ne_u64_e32 vcc_lo, v[2:3], v[4:5]
	s_or_not1_b32 s0, vcc_lo, exec_lo
	s_delay_alu instid0(VALU_DEP_2) | instskip(NEXT) | instid1(VALU_DEP_1)
	v_mov_b32_e32 v0, v7
	v_mad_u64_u32 v[7:8], null, v5, s3, v[0:1]
	s_delay_alu instid0(VALU_DEP_1)
	v_dual_mov_b32 v0, v6 :: v_dual_mov_b32 v1, v7
.LBB2_9:
	s_or_b32 exec_lo, exec_lo, s1
	s_delay_alu instid0(SALU_CYCLE_1)
	s_and_b32 exec_lo, exec_lo, s0
	s_cbranch_execz .LBB2_12
; %bb.10:
	s_delay_alu instid0(VALU_DEP_1)
	v_lshlrev_b64 v[2:3], 1, v[0:1]
	s_lshl_b32 s11, s3, 1
	s_mov_b32 s12, 0
.LBB2_11:                               ; =>This Inner Loop Header: Depth=1
	s_delay_alu instid0(VALU_DEP_1) | instskip(NEXT) | instid1(VALU_DEP_2)
	v_add_co_u32 v4, vcc_lo, s2, v2
	v_add_co_ci_u32_e32 v5, vcc_lo, s6, v3, vcc_lo
	global_load_u16 v6, v[4:5], off
	v_add_co_u32 v4, vcc_lo, s7, v2
	v_add_co_ci_u32_e32 v5, vcc_lo, s10, v3, vcc_lo
	global_load_u16 v4, v[4:5], off
	s_waitcnt vmcnt(1)
	v_lshlrev_b32_e32 v5, 16, v6
	s_delay_alu instid0(VALU_DEP_1) | instskip(SKIP_1) | instid1(VALU_DEP_2)
	v_xor_b32_e32 v6, 0x80000000, v5
	v_cmp_o_f32_e32 vcc_lo, v5, v5
	v_bfe_u32 v7, v6, 16, 1
	s_delay_alu instid0(VALU_DEP_1) | instskip(NEXT) | instid1(VALU_DEP_1)
	v_add3_u32 v6, v6, v7, 0x7fff
	v_and_b32_e32 v6, 0xffff0000, v6
	s_delay_alu instid0(VALU_DEP_1) | instskip(NEXT) | instid1(VALU_DEP_1)
	v_cndmask_b32_e32 v6, 0x7fc00000, v6, vcc_lo
	v_mul_f32_e32 v7, 0x3fb8aa3b, v6
	s_delay_alu instid0(VALU_DEP_1) | instskip(SKIP_1) | instid1(VALU_DEP_1)
	v_fma_f32 v8, 0x3fb8aa3b, v6, -v7
	v_rndne_f32_e32 v9, v7
	v_dual_fmac_f32 v8, 0x32a5705f, v6 :: v_dual_sub_f32 v7, v7, v9
	s_delay_alu instid0(VALU_DEP_1) | instskip(SKIP_2) | instid1(VALU_DEP_3)
	v_add_f32_e32 v7, v7, v8
	v_cvt_i32_f32_e32 v8, v9
	v_cmp_ngt_f32_e32 vcc_lo, 0xc2ce8ed0, v6
	v_exp_f32_e32 v7, v7
	s_waitcnt_depctr 0xfff
	v_ldexp_f32 v7, v7, v8
	s_delay_alu instid0(VALU_DEP_1) | instskip(SKIP_1) | instid1(VALU_DEP_2)
	v_cndmask_b32_e32 v7, 0, v7, vcc_lo
	v_cmp_nlt_f32_e32 vcc_lo, 0x42b17218, v6
	v_cndmask_b32_e32 v6, 0x7f800000, v7, vcc_lo
	s_delay_alu instid0(VALU_DEP_1) | instskip(NEXT) | instid1(VALU_DEP_1)
	v_add_f32_e32 v6, 1.0, v6
	v_div_scale_f32 v7, null, v6, v6, v5
	v_div_scale_f32 v10, vcc_lo, v5, v6, v5
	s_delay_alu instid0(VALU_DEP_2) | instskip(SKIP_2) | instid1(VALU_DEP_1)
	v_rcp_f32_e32 v8, v7
	s_waitcnt_depctr 0xfff
	v_fma_f32 v9, -v7, v8, 1.0
	v_fmac_f32_e32 v8, v9, v8
	s_delay_alu instid0(VALU_DEP_1) | instskip(NEXT) | instid1(VALU_DEP_1)
	v_mul_f32_e32 v9, v10, v8
	v_fma_f32 v11, -v7, v9, v10
	s_delay_alu instid0(VALU_DEP_1) | instskip(NEXT) | instid1(VALU_DEP_1)
	v_fmac_f32_e32 v9, v11, v8
	v_fma_f32 v7, -v7, v9, v10
	s_delay_alu instid0(VALU_DEP_1) | instskip(NEXT) | instid1(VALU_DEP_1)
	v_div_fmas_f32 v7, v7, v8, v9
	v_div_fixup_f32 v5, v7, v6, v5
	s_delay_alu instid0(VALU_DEP_1) | instskip(SKIP_1) | instid1(VALU_DEP_2)
	v_bfe_u32 v6, v5, 16, 1
	v_cmp_o_f32_e32 vcc_lo, v5, v5
	v_add3_u32 v6, v5, v6, 0x7fff
	s_delay_alu instid0(VALU_DEP_1) | instskip(SKIP_1) | instid1(VALU_DEP_1)
	v_and_b32_e32 v6, 0xffff0000, v6
	s_waitcnt vmcnt(0)
	v_dual_cndmask_b32 v5, 0x7fc00000, v6 :: v_dual_lshlrev_b32 v4, 16, v4
	v_add_co_u32 v0, vcc_lo, v0, s3
	v_add_co_ci_u32_e32 v1, vcc_lo, 0, v1, vcc_lo
	s_delay_alu instid0(VALU_DEP_3) | instskip(NEXT) | instid1(VALU_DEP_2)
	v_mul_f32_e32 v6, v5, v4
	v_cmp_le_i64_e64 s0, s[8:9], v[0:1]
	s_delay_alu instid0(VALU_DEP_2) | instskip(SKIP_1) | instid1(VALU_DEP_3)
	v_bfe_u32 v4, v6, 16, 1
	v_cmp_o_f32_e64 s1, v6, v6
	s_or_b32 s12, s0, s12
	s_delay_alu instid0(VALU_DEP_2) | instskip(SKIP_2) | instid1(VALU_DEP_3)
	v_add3_u32 v7, v6, v4, 0x7fff
	v_add_co_u32 v4, vcc_lo, s4, v2
	v_add_co_ci_u32_e32 v5, vcc_lo, s5, v3, vcc_lo
	v_lshrrev_b32_e32 v7, 16, v7
	v_add_co_u32 v2, vcc_lo, v2, s11
	v_add_co_ci_u32_e32 v3, vcc_lo, 0, v3, vcc_lo
	s_delay_alu instid0(VALU_DEP_3)
	v_cndmask_b32_e64 v6, 0x7fc0, v7, s1
	global_store_b16 v[4:5], v6, off
	s_and_not1_b32 exec_lo, exec_lo, s12
	s_cbranch_execnz .LBB2_11
.LBB2_12:
	s_nop 0
	s_sendmsg sendmsg(MSG_DEALLOC_VGPRS)
	s_endpgm
	.section	.rodata,"a",@progbits
	.p2align	6, 0x0
	.amdhsa_kernel _ZN4vllm18act_and_mul_kernelIN3c108BFloat16ETnPFT_RKS3_EXadL_ZNS_11silu_kernelIS2_EES3_S5_EELb1EEEvPS3_PS4_i
		.amdhsa_group_segment_fixed_size 0
		.amdhsa_private_segment_fixed_size 0
		.amdhsa_kernarg_size 280
		.amdhsa_user_sgpr_count 15
		.amdhsa_user_sgpr_dispatch_ptr 0
		.amdhsa_user_sgpr_queue_ptr 0
		.amdhsa_user_sgpr_kernarg_segment_ptr 1
		.amdhsa_user_sgpr_dispatch_id 0
		.amdhsa_user_sgpr_private_segment_size 0
		.amdhsa_wavefront_size32 1
		.amdhsa_uses_dynamic_stack 0
		.amdhsa_enable_private_segment 0
		.amdhsa_system_sgpr_workgroup_id_x 1
		.amdhsa_system_sgpr_workgroup_id_y 0
		.amdhsa_system_sgpr_workgroup_id_z 0
		.amdhsa_system_sgpr_workgroup_info 0
		.amdhsa_system_vgpr_workitem_id 0
		.amdhsa_next_free_vgpr 25
		.amdhsa_next_free_sgpr 16
		.amdhsa_reserve_vcc 1
		.amdhsa_float_round_mode_32 0
		.amdhsa_float_round_mode_16_64 0
		.amdhsa_float_denorm_mode_32 3
		.amdhsa_float_denorm_mode_16_64 3
		.amdhsa_dx10_clamp 1
		.amdhsa_ieee_mode 1
		.amdhsa_fp16_overflow 0
		.amdhsa_workgroup_processor_mode 1
		.amdhsa_memory_ordered 1
		.amdhsa_forward_progress 0
		.amdhsa_shared_vgpr_count 0
		.amdhsa_exception_fp_ieee_invalid_op 0
		.amdhsa_exception_fp_denorm_src 0
		.amdhsa_exception_fp_ieee_div_zero 0
		.amdhsa_exception_fp_ieee_overflow 0
		.amdhsa_exception_fp_ieee_underflow 0
		.amdhsa_exception_fp_ieee_inexact 0
		.amdhsa_exception_int_div_zero 0
	.end_amdhsa_kernel
	.section	.text._ZN4vllm18act_and_mul_kernelIN3c108BFloat16ETnPFT_RKS3_EXadL_ZNS_11silu_kernelIS2_EES3_S5_EELb1EEEvPS3_PS4_i,"axG",@progbits,_ZN4vllm18act_and_mul_kernelIN3c108BFloat16ETnPFT_RKS3_EXadL_ZNS_11silu_kernelIS2_EES3_S5_EELb1EEEvPS3_PS4_i,comdat
.Lfunc_end2:
	.size	_ZN4vllm18act_and_mul_kernelIN3c108BFloat16ETnPFT_RKS3_EXadL_ZNS_11silu_kernelIS2_EES3_S5_EELb1EEEvPS3_PS4_i, .Lfunc_end2-_ZN4vllm18act_and_mul_kernelIN3c108BFloat16ETnPFT_RKS3_EXadL_ZNS_11silu_kernelIS2_EES3_S5_EELb1EEEvPS3_PS4_i
                                        ; -- End function
	.section	.AMDGPU.csdata,"",@progbits
; Kernel info:
; codeLenInByte = 2640
; NumSgprs: 18
; NumVgprs: 25
; ScratchSize: 0
; MemoryBound: 0
; FloatMode: 240
; IeeeMode: 1
; LDSByteSize: 0 bytes/workgroup (compile time only)
; SGPRBlocks: 2
; VGPRBlocks: 3
; NumSGPRsForWavesPerEU: 18
; NumVGPRsForWavesPerEU: 25
; Occupancy: 16
; WaveLimiterHint : 0
; COMPUTE_PGM_RSRC2:SCRATCH_EN: 0
; COMPUTE_PGM_RSRC2:USER_SGPR: 15
; COMPUTE_PGM_RSRC2:TRAP_HANDLER: 0
; COMPUTE_PGM_RSRC2:TGID_X_EN: 1
; COMPUTE_PGM_RSRC2:TGID_Y_EN: 0
; COMPUTE_PGM_RSRC2:TGID_Z_EN: 0
; COMPUTE_PGM_RSRC2:TIDIG_COMP_CNT: 0
	.section	.text._ZN4vllm18act_and_mul_kernelIfTnPFT_RKS1_EXadL_ZNS_11silu_kernelIfEES1_S3_EELb0EEEvPS1_PS2_i,"axG",@progbits,_ZN4vllm18act_and_mul_kernelIfTnPFT_RKS1_EXadL_ZNS_11silu_kernelIfEES1_S3_EELb0EEEvPS1_PS2_i,comdat
	.protected	_ZN4vllm18act_and_mul_kernelIfTnPFT_RKS1_EXadL_ZNS_11silu_kernelIfEES1_S3_EELb0EEEvPS1_PS2_i ; -- Begin function _ZN4vllm18act_and_mul_kernelIfTnPFT_RKS1_EXadL_ZNS_11silu_kernelIfEES1_S3_EELb0EEEvPS1_PS2_i
	.globl	_ZN4vllm18act_and_mul_kernelIfTnPFT_RKS1_EXadL_ZNS_11silu_kernelIfEES1_S3_EELb0EEEvPS1_PS2_i
	.p2align	8
	.type	_ZN4vllm18act_and_mul_kernelIfTnPFT_RKS1_EXadL_ZNS_11silu_kernelIfEES1_S3_EELb0EEEvPS1_PS2_i,@function
_ZN4vllm18act_and_mul_kernelIfTnPFT_RKS1_EXadL_ZNS_11silu_kernelIfEES1_S3_EELb0EEEvPS1_PS2_i: ; @_ZN4vllm18act_and_mul_kernelIfTnPFT_RKS1_EXadL_ZNS_11silu_kernelIfEES1_S3_EELb0EEEvPS1_PS2_i
; %bb.0:
	s_load_b32 s2, s[0:1], 0x10
	s_mov_b32 s3, exec_lo
	s_waitcnt lgkmcnt(0)
	v_cmpx_gt_i32_e64 s2, v0
	s_cbranch_execz .LBB3_3
; %bb.1:
	s_clause 0x1
	s_load_b128 s[8:11], s[0:1], 0x0
	s_load_b32 s0, s[0:1], 0x24
	s_ashr_i32 s3, s2, 31
	s_mul_hi_u32 s1, s15, s2
	s_mul_i32 s4, s15, s3
	s_mul_i32 s12, s15, s2
	s_add_i32 s13, s1, s4
	v_dual_mov_b32 v1, 0 :: v_dual_lshlrev_b32 v2, 2, v0
	s_lshl_b64 s[4:5], s[12:13], 3
	s_delay_alu instid0(VALU_DEP_1) | instskip(SKIP_4) | instid1(SALU_CYCLE_1)
	v_mov_b32_e32 v3, v1
	s_waitcnt lgkmcnt(0)
	s_add_u32 s1, s10, s4
	s_addc_u32 s4, s11, s5
	s_lshl_b64 s[6:7], s[2:3], 2
	s_add_u32 s5, s1, s6
	s_addc_u32 s6, s4, s7
	s_lshl_b64 s[10:11], s[12:13], 2
	s_delay_alu instid0(SALU_CYCLE_1)
	s_add_u32 s7, s8, s10
	s_addc_u32 s8, s9, s11
	s_and_b32 s9, s0, 0xffff
	s_mov_b32 s10, 0
	s_lshl_b32 s11, s9, 2
.LBB3_2:                                ; =>This Inner Loop Header: Depth=1
	v_add_co_u32 v4, vcc_lo, s5, v2
	v_add_co_ci_u32_e32 v5, vcc_lo, s6, v3, vcc_lo
	v_add_co_u32 v6, vcc_lo, s1, v2
	v_add_co_ci_u32_e32 v7, vcc_lo, s4, v3, vcc_lo
	v_add_co_u32 v0, s0, v0, s9
	s_clause 0x1
	global_load_b32 v8, v[4:5], off
	global_load_b32 v6, v[6:7], off
	v_add_co_ci_u32_e64 v1, s0, 0, v1, s0
	s_waitcnt vmcnt(1)
	v_mul_f32_e32 v4, 0xbfb8aa3b, v8
	v_cmp_nlt_f32_e32 vcc_lo, 0x42ce8ed0, v8
	s_delay_alu instid0(VALU_DEP_2) | instskip(SKIP_1) | instid1(VALU_DEP_1)
	v_fma_f32 v5, 0xbfb8aa3b, v8, -v4
	v_rndne_f32_e32 v7, v4
	v_dual_fmac_f32 v5, 0xb2a5705f, v8 :: v_dual_sub_f32 v4, v4, v7
	s_delay_alu instid0(VALU_DEP_1) | instskip(SKIP_1) | instid1(VALU_DEP_2)
	v_add_f32_e32 v4, v4, v5
	v_cvt_i32_f32_e32 v5, v7
	v_exp_f32_e32 v4, v4
	s_waitcnt_depctr 0xfff
	v_ldexp_f32 v4, v4, v5
	s_delay_alu instid0(VALU_DEP_1) | instskip(SKIP_1) | instid1(VALU_DEP_2)
	v_cndmask_b32_e32 v4, 0, v4, vcc_lo
	v_cmp_ngt_f32_e32 vcc_lo, 0xc2b17218, v8
	v_cndmask_b32_e32 v4, 0x7f800000, v4, vcc_lo
	s_delay_alu instid0(VALU_DEP_1) | instskip(NEXT) | instid1(VALU_DEP_1)
	v_add_f32_e32 v7, 1.0, v4
	v_div_scale_f32 v4, null, v7, v7, v8
	v_div_scale_f32 v10, vcc_lo, v8, v7, v8
	s_delay_alu instid0(VALU_DEP_2) | instskip(SKIP_2) | instid1(VALU_DEP_1)
	v_rcp_f32_e32 v5, v4
	s_waitcnt_depctr 0xfff
	v_fma_f32 v9, -v4, v5, 1.0
	v_fmac_f32_e32 v5, v9, v5
	s_delay_alu instid0(VALU_DEP_1) | instskip(NEXT) | instid1(VALU_DEP_1)
	v_mul_f32_e32 v9, v10, v5
	v_fma_f32 v11, -v4, v9, v10
	s_delay_alu instid0(VALU_DEP_1) | instskip(NEXT) | instid1(VALU_DEP_1)
	v_fmac_f32_e32 v9, v11, v5
	v_fma_f32 v4, -v4, v9, v10
	s_delay_alu instid0(VALU_DEP_1) | instskip(SKIP_2) | instid1(VALU_DEP_3)
	v_div_fmas_f32 v9, v4, v5, v9
	v_add_co_u32 v4, vcc_lo, s7, v2
	v_add_co_ci_u32_e32 v5, vcc_lo, s8, v3, vcc_lo
	v_div_fixup_f32 v7, v9, v7, v8
	v_cmp_le_i64_e32 vcc_lo, s[2:3], v[0:1]
	v_add_co_u32 v2, s0, v2, s11
	s_delay_alu instid0(VALU_DEP_1)
	v_add_co_ci_u32_e64 v3, s0, 0, v3, s0
	s_waitcnt vmcnt(0)
	v_mul_f32_e32 v6, v6, v7
	s_or_b32 s10, vcc_lo, s10
	global_store_b32 v[4:5], v6, off
	s_and_not1_b32 exec_lo, exec_lo, s10
	s_cbranch_execnz .LBB3_2
.LBB3_3:
	s_nop 0
	s_sendmsg sendmsg(MSG_DEALLOC_VGPRS)
	s_endpgm
	.section	.rodata,"a",@progbits
	.p2align	6, 0x0
	.amdhsa_kernel _ZN4vllm18act_and_mul_kernelIfTnPFT_RKS1_EXadL_ZNS_11silu_kernelIfEES1_S3_EELb0EEEvPS1_PS2_i
		.amdhsa_group_segment_fixed_size 0
		.amdhsa_private_segment_fixed_size 0
		.amdhsa_kernarg_size 280
		.amdhsa_user_sgpr_count 15
		.amdhsa_user_sgpr_dispatch_ptr 0
		.amdhsa_user_sgpr_queue_ptr 0
		.amdhsa_user_sgpr_kernarg_segment_ptr 1
		.amdhsa_user_sgpr_dispatch_id 0
		.amdhsa_user_sgpr_private_segment_size 0
		.amdhsa_wavefront_size32 1
		.amdhsa_uses_dynamic_stack 0
		.amdhsa_enable_private_segment 0
		.amdhsa_system_sgpr_workgroup_id_x 1
		.amdhsa_system_sgpr_workgroup_id_y 0
		.amdhsa_system_sgpr_workgroup_id_z 0
		.amdhsa_system_sgpr_workgroup_info 0
		.amdhsa_system_vgpr_workitem_id 0
		.amdhsa_next_free_vgpr 12
		.amdhsa_next_free_sgpr 16
		.amdhsa_reserve_vcc 1
		.amdhsa_float_round_mode_32 0
		.amdhsa_float_round_mode_16_64 0
		.amdhsa_float_denorm_mode_32 3
		.amdhsa_float_denorm_mode_16_64 3
		.amdhsa_dx10_clamp 1
		.amdhsa_ieee_mode 1
		.amdhsa_fp16_overflow 0
		.amdhsa_workgroup_processor_mode 1
		.amdhsa_memory_ordered 1
		.amdhsa_forward_progress 0
		.amdhsa_shared_vgpr_count 0
		.amdhsa_exception_fp_ieee_invalid_op 0
		.amdhsa_exception_fp_denorm_src 0
		.amdhsa_exception_fp_ieee_div_zero 0
		.amdhsa_exception_fp_ieee_overflow 0
		.amdhsa_exception_fp_ieee_underflow 0
		.amdhsa_exception_fp_ieee_inexact 0
		.amdhsa_exception_int_div_zero 0
	.end_amdhsa_kernel
	.section	.text._ZN4vllm18act_and_mul_kernelIfTnPFT_RKS1_EXadL_ZNS_11silu_kernelIfEES1_S3_EELb0EEEvPS1_PS2_i,"axG",@progbits,_ZN4vllm18act_and_mul_kernelIfTnPFT_RKS1_EXadL_ZNS_11silu_kernelIfEES1_S3_EELb0EEEvPS1_PS2_i,comdat
.Lfunc_end3:
	.size	_ZN4vllm18act_and_mul_kernelIfTnPFT_RKS1_EXadL_ZNS_11silu_kernelIfEES1_S3_EELb0EEEvPS1_PS2_i, .Lfunc_end3-_ZN4vllm18act_and_mul_kernelIfTnPFT_RKS1_EXadL_ZNS_11silu_kernelIfEES1_S3_EELb0EEEvPS1_PS2_i
                                        ; -- End function
	.section	.AMDGPU.csdata,"",@progbits
; Kernel info:
; codeLenInByte = 484
; NumSgprs: 18
; NumVgprs: 12
; ScratchSize: 0
; MemoryBound: 0
; FloatMode: 240
; IeeeMode: 1
; LDSByteSize: 0 bytes/workgroup (compile time only)
; SGPRBlocks: 2
; VGPRBlocks: 1
; NumSGPRsForWavesPerEU: 18
; NumVGPRsForWavesPerEU: 12
; Occupancy: 16
; WaveLimiterHint : 0
; COMPUTE_PGM_RSRC2:SCRATCH_EN: 0
; COMPUTE_PGM_RSRC2:USER_SGPR: 15
; COMPUTE_PGM_RSRC2:TRAP_HANDLER: 0
; COMPUTE_PGM_RSRC2:TGID_X_EN: 1
; COMPUTE_PGM_RSRC2:TGID_Y_EN: 0
; COMPUTE_PGM_RSRC2:TGID_Z_EN: 0
; COMPUTE_PGM_RSRC2:TIDIG_COMP_CNT: 0
	.section	.text._ZN4vllm18act_and_mul_kernelIN3c104HalfETnPFT_RKS3_EXadL_ZNS_11silu_kernelIS2_EES3_S5_EELb0EEEvPS3_PS4_i,"axG",@progbits,_ZN4vllm18act_and_mul_kernelIN3c104HalfETnPFT_RKS3_EXadL_ZNS_11silu_kernelIS2_EES3_S5_EELb0EEEvPS3_PS4_i,comdat
	.protected	_ZN4vllm18act_and_mul_kernelIN3c104HalfETnPFT_RKS3_EXadL_ZNS_11silu_kernelIS2_EES3_S5_EELb0EEEvPS3_PS4_i ; -- Begin function _ZN4vllm18act_and_mul_kernelIN3c104HalfETnPFT_RKS3_EXadL_ZNS_11silu_kernelIS2_EES3_S5_EELb0EEEvPS3_PS4_i
	.globl	_ZN4vllm18act_and_mul_kernelIN3c104HalfETnPFT_RKS3_EXadL_ZNS_11silu_kernelIS2_EES3_S5_EELb0EEEvPS3_PS4_i
	.p2align	8
	.type	_ZN4vllm18act_and_mul_kernelIN3c104HalfETnPFT_RKS3_EXadL_ZNS_11silu_kernelIS2_EES3_S5_EELb0EEEvPS3_PS4_i,@function
_ZN4vllm18act_and_mul_kernelIN3c104HalfETnPFT_RKS3_EXadL_ZNS_11silu_kernelIS2_EES3_S5_EELb0EEEvPS3_PS4_i: ; @_ZN4vllm18act_and_mul_kernelIN3c104HalfETnPFT_RKS3_EXadL_ZNS_11silu_kernelIS2_EES3_S5_EELb0EEEvPS3_PS4_i
; %bb.0:
	s_load_b32 s8, s[0:1], 0x10
	s_mov_b32 s2, exec_lo
	s_waitcnt lgkmcnt(0)
	v_cmpx_gt_i32_e64 s8, v0
	s_cbranch_execz .LBB4_12
; %bb.1:
	s_clause 0x1
	s_load_b32 s2, s[0:1], 0x24
	s_load_b128 s[4:7], s[0:1], 0x0
	s_ashr_i32 s9, s8, 31
	s_mov_b32 s0, exec_lo
	s_waitcnt lgkmcnt(0)
	s_and_b32 s3, s2, 0xffff
	s_delay_alu instid0(SALU_CYCLE_1) | instskip(NEXT) | instid1(VALU_DEP_1)
	v_add_co_u32 v1, s2, v0, s3
	v_add_co_ci_u32_e64 v2, null, 0, 0, s2
	s_delay_alu instid0(VALU_DEP_1) | instskip(SKIP_1) | instid1(VALU_DEP_2)
	v_cmp_gt_i64_e64 s2, s[8:9], v[1:2]
	v_cmp_lt_i64_e32 vcc_lo, s[8:9], v[1:2]
	v_cndmask_b32_e64 v6, 0, 1, s2
	v_cndmask_b32_e32 v3, s9, v2, vcc_lo
	v_cndmask_b32_e32 v4, s8, v1, vcc_lo
	s_delay_alu instid0(VALU_DEP_3) | instskip(SKIP_2) | instid1(VALU_DEP_3)
	v_add_co_u32 v5, vcc_lo, v1, v6
	v_mov_b32_e32 v1, 0
	v_add_co_ci_u32_e32 v2, vcc_lo, 0, v2, vcc_lo
	v_sub_co_u32 v7, vcc_lo, v4, v5
                                        ; implicit-def: $vgpr4_vgpr5
	s_delay_alu instid0(VALU_DEP_2) | instskip(NEXT) | instid1(VALU_DEP_4)
	v_sub_co_ci_u32_e32 v3, vcc_lo, v3, v2, vcc_lo
	v_mov_b32_e32 v2, v1
	s_delay_alu instid0(VALU_DEP_1)
	v_cmpx_ne_u64_e32 0, v[2:3]
	s_xor_b32 s1, exec_lo, s0
	s_cbranch_execz .LBB4_3
; %bb.2:
	v_cvt_f32_u32_e32 v2, s3
	s_sub_u32 s0, 0, s3
	s_subb_u32 s2, 0, 0
	s_delay_alu instid0(VALU_DEP_1) | instskip(NEXT) | instid1(VALU_DEP_1)
	v_fmamk_f32 v2, 0, 0x4f800000, v2
	v_rcp_f32_e32 v2, v2
	s_waitcnt_depctr 0xfff
	v_mul_f32_e32 v2, 0x5f7ffffc, v2
	s_delay_alu instid0(VALU_DEP_1) | instskip(NEXT) | instid1(VALU_DEP_1)
	v_mul_f32_e32 v4, 0x2f800000, v2
	v_trunc_f32_e32 v4, v4
	s_delay_alu instid0(VALU_DEP_1) | instskip(SKIP_1) | instid1(VALU_DEP_2)
	v_fmamk_f32 v2, v4, 0xcf800000, v2
	v_cvt_u32_f32_e32 v4, v4
	v_cvt_u32_f32_e32 v2, v2
	s_delay_alu instid0(VALU_DEP_2) | instskip(NEXT) | instid1(VALU_DEP_2)
	v_mul_lo_u32 v5, s0, v4
	v_mul_hi_u32 v8, s0, v2
	v_mul_lo_u32 v9, s2, v2
	s_delay_alu instid0(VALU_DEP_2) | instskip(SKIP_1) | instid1(VALU_DEP_2)
	v_add_nc_u32_e32 v5, v8, v5
	v_mul_lo_u32 v8, s0, v2
	v_add_nc_u32_e32 v5, v5, v9
	s_delay_alu instid0(VALU_DEP_2) | instskip(NEXT) | instid1(VALU_DEP_2)
	v_mul_hi_u32 v9, v2, v8
	v_mul_lo_u32 v10, v2, v5
	v_mul_hi_u32 v11, v2, v5
	v_mul_hi_u32 v12, v4, v8
	v_mul_lo_u32 v8, v4, v8
	v_mul_hi_u32 v13, v4, v5
	v_mul_lo_u32 v5, v4, v5
	v_add_co_u32 v9, vcc_lo, v9, v10
	v_add_co_ci_u32_e32 v10, vcc_lo, 0, v11, vcc_lo
	s_delay_alu instid0(VALU_DEP_2) | instskip(NEXT) | instid1(VALU_DEP_2)
	v_add_co_u32 v8, vcc_lo, v9, v8
	v_add_co_ci_u32_e32 v8, vcc_lo, v10, v12, vcc_lo
	v_add_co_ci_u32_e32 v9, vcc_lo, 0, v13, vcc_lo
	s_delay_alu instid0(VALU_DEP_2) | instskip(NEXT) | instid1(VALU_DEP_2)
	v_add_co_u32 v5, vcc_lo, v8, v5
	v_add_co_ci_u32_e32 v8, vcc_lo, 0, v9, vcc_lo
	s_delay_alu instid0(VALU_DEP_2) | instskip(NEXT) | instid1(VALU_DEP_2)
	v_add_co_u32 v2, vcc_lo, v2, v5
	v_add_co_ci_u32_e32 v4, vcc_lo, v4, v8, vcc_lo
	s_delay_alu instid0(VALU_DEP_2) | instskip(SKIP_1) | instid1(VALU_DEP_3)
	v_mul_hi_u32 v5, s0, v2
	v_mul_lo_u32 v9, s2, v2
	v_mul_lo_u32 v8, s0, v4
	s_delay_alu instid0(VALU_DEP_1) | instskip(SKIP_1) | instid1(VALU_DEP_2)
	v_add_nc_u32_e32 v5, v5, v8
	v_mul_lo_u32 v8, s0, v2
	v_add_nc_u32_e32 v5, v5, v9
	s_delay_alu instid0(VALU_DEP_2) | instskip(NEXT) | instid1(VALU_DEP_2)
	v_mul_hi_u32 v9, v2, v8
	v_mul_lo_u32 v10, v2, v5
	v_mul_hi_u32 v11, v2, v5
	v_mul_hi_u32 v12, v4, v8
	v_mul_lo_u32 v8, v4, v8
	v_mul_hi_u32 v13, v4, v5
	v_mul_lo_u32 v5, v4, v5
	v_add_co_u32 v9, vcc_lo, v9, v10
	v_add_co_ci_u32_e32 v10, vcc_lo, 0, v11, vcc_lo
	s_delay_alu instid0(VALU_DEP_2) | instskip(NEXT) | instid1(VALU_DEP_2)
	v_add_co_u32 v8, vcc_lo, v9, v8
	v_add_co_ci_u32_e32 v8, vcc_lo, v10, v12, vcc_lo
	v_add_co_ci_u32_e32 v9, vcc_lo, 0, v13, vcc_lo
	s_delay_alu instid0(VALU_DEP_2) | instskip(NEXT) | instid1(VALU_DEP_2)
	v_add_co_u32 v5, vcc_lo, v8, v5
	v_add_co_ci_u32_e32 v8, vcc_lo, 0, v9, vcc_lo
	s_delay_alu instid0(VALU_DEP_2) | instskip(NEXT) | instid1(VALU_DEP_2)
	v_add_co_u32 v2, vcc_lo, v2, v5
	v_add_co_ci_u32_e32 v12, vcc_lo, v4, v8, vcc_lo
	s_delay_alu instid0(VALU_DEP_2) | instskip(SKIP_1) | instid1(VALU_DEP_3)
	v_mul_hi_u32 v13, v7, v2
	v_mad_u64_u32 v[8:9], null, v3, v2, 0
	v_mad_u64_u32 v[4:5], null, v7, v12, 0
	;; [unrolled: 1-line block ×3, first 2 shown]
	s_delay_alu instid0(VALU_DEP_2) | instskip(NEXT) | instid1(VALU_DEP_3)
	v_add_co_u32 v2, vcc_lo, v13, v4
	v_add_co_ci_u32_e32 v4, vcc_lo, 0, v5, vcc_lo
	s_delay_alu instid0(VALU_DEP_2) | instskip(NEXT) | instid1(VALU_DEP_2)
	v_add_co_u32 v2, vcc_lo, v2, v8
	v_add_co_ci_u32_e32 v2, vcc_lo, v4, v9, vcc_lo
	v_add_co_ci_u32_e32 v4, vcc_lo, 0, v11, vcc_lo
	s_delay_alu instid0(VALU_DEP_2) | instskip(NEXT) | instid1(VALU_DEP_2)
	v_add_co_u32 v10, vcc_lo, v2, v10
	v_add_co_ci_u32_e32 v11, vcc_lo, 0, v4, vcc_lo
	s_delay_alu instid0(VALU_DEP_2) | instskip(NEXT) | instid1(VALU_DEP_1)
	v_mad_u64_u32 v[4:5], null, s3, v10, 0
	v_mov_b32_e32 v2, v5
	s_delay_alu instid0(VALU_DEP_1) | instskip(NEXT) | instid1(VALU_DEP_3)
	v_mad_u64_u32 v[8:9], null, s3, v11, v[2:3]
	v_sub_co_u32 v2, vcc_lo, v7, v4
	s_delay_alu instid0(VALU_DEP_2) | instskip(NEXT) | instid1(VALU_DEP_2)
	v_sub_co_ci_u32_e32 v3, vcc_lo, v3, v8, vcc_lo
	v_sub_co_u32 v4, vcc_lo, v2, s3
	s_delay_alu instid0(VALU_DEP_2) | instskip(NEXT) | instid1(VALU_DEP_2)
	v_subrev_co_ci_u32_e32 v5, vcc_lo, 0, v3, vcc_lo
	v_cmp_le_u32_e32 vcc_lo, s3, v4
	v_cmp_eq_u32_e64 s0, 0, v3
	v_cndmask_b32_e64 v4, 0, -1, vcc_lo
	v_add_co_u32 v7, vcc_lo, v10, 2
	v_add_co_ci_u32_e32 v8, vcc_lo, 0, v11, vcc_lo
	v_cmp_le_u32_e32 vcc_lo, s3, v2
	v_cndmask_b32_e64 v2, 0, -1, vcc_lo
	v_cmp_eq_u32_e32 vcc_lo, 0, v5
	s_delay_alu instid0(VALU_DEP_2) | instskip(SKIP_3) | instid1(VALU_DEP_3)
	v_cndmask_b32_e64 v2, -1, v2, s0
	v_cndmask_b32_e32 v4, -1, v4, vcc_lo
	v_add_co_u32 v5, vcc_lo, v10, 1
	v_add_co_ci_u32_e32 v9, vcc_lo, 0, v11, vcc_lo
	v_cmp_ne_u32_e32 vcc_lo, 0, v4
	s_delay_alu instid0(VALU_DEP_2) | instskip(NEXT) | instid1(VALU_DEP_4)
	v_cndmask_b32_e32 v3, v9, v8, vcc_lo
	v_cndmask_b32_e32 v4, v5, v7, vcc_lo
	v_cmp_ne_u32_e32 vcc_lo, 0, v2
                                        ; implicit-def: $vgpr7
	s_delay_alu instid0(VALU_DEP_2)
	v_dual_cndmask_b32 v5, v11, v3 :: v_dual_cndmask_b32 v4, v10, v4
.LBB4_3:
	s_and_not1_saveexec_b32 s0, s1
	s_cbranch_execz .LBB4_5
; %bb.4:
	v_cvt_f32_u32_e32 v2, s3
	s_sub_i32 s1, 0, s3
	s_delay_alu instid0(VALU_DEP_1) | instskip(SKIP_2) | instid1(VALU_DEP_1)
	v_rcp_iflag_f32_e32 v2, v2
	s_waitcnt_depctr 0xfff
	v_mul_f32_e32 v2, 0x4f7ffffe, v2
	v_cvt_u32_f32_e32 v2, v2
	s_delay_alu instid0(VALU_DEP_1) | instskip(NEXT) | instid1(VALU_DEP_1)
	v_mul_lo_u32 v3, s1, v2
	v_mul_hi_u32 v3, v2, v3
	s_delay_alu instid0(VALU_DEP_1) | instskip(NEXT) | instid1(VALU_DEP_1)
	v_add_nc_u32_e32 v2, v2, v3
	v_mul_hi_u32 v2, v7, v2
	s_delay_alu instid0(VALU_DEP_1) | instskip(SKIP_1) | instid1(VALU_DEP_2)
	v_mul_lo_u32 v3, v2, s3
	v_add_nc_u32_e32 v4, 1, v2
	v_sub_nc_u32_e32 v3, v7, v3
	s_delay_alu instid0(VALU_DEP_1) | instskip(SKIP_1) | instid1(VALU_DEP_2)
	v_subrev_nc_u32_e32 v5, s3, v3
	v_cmp_le_u32_e32 vcc_lo, s3, v3
	v_cndmask_b32_e32 v3, v3, v5, vcc_lo
	v_dual_mov_b32 v5, 0 :: v_dual_cndmask_b32 v2, v2, v4
	s_delay_alu instid0(VALU_DEP_2) | instskip(NEXT) | instid1(VALU_DEP_2)
	v_cmp_le_u32_e32 vcc_lo, s3, v3
	v_add_nc_u32_e32 v4, 1, v2
	s_delay_alu instid0(VALU_DEP_1)
	v_cndmask_b32_e32 v4, v2, v4, vcc_lo
.LBB4_5:
	s_or_b32 exec_lo, exec_lo, s0
	s_delay_alu instid0(VALU_DEP_1) | instskip(SKIP_3) | instid1(VALU_DEP_2)
	v_add_co_u32 v2, vcc_lo, v4, v6
	v_add_co_ci_u32_e32 v3, vcc_lo, 0, v5, vcc_lo
	s_mul_i32 s0, s15, s9
	s_mul_hi_u32 s1, s15, s8
	v_add_co_u32 v2, vcc_lo, v2, 1
	s_mul_i32 s10, s15, s8
	s_add_i32 s11, s1, s0
	v_add_co_ci_u32_e32 v3, vcc_lo, 0, v3, vcc_lo
	s_lshl_b64 s[12:13], s[10:11], 2
	v_cmp_eq_u16_e64 s0, s3, 1
	s_add_u32 s1, s6, s12
	s_addc_u32 s2, s7, s13
	s_lshl_b64 s[6:7], s[8:9], 1
	v_cmp_lt_u64_e32 vcc_lo, 1, v[2:3]
	s_add_u32 s6, s1, s6
	s_addc_u32 s7, s2, s7
	s_lshl_b64 s[10:11], s[10:11], 1
	s_delay_alu instid0(SALU_CYCLE_1)
	s_add_u32 s4, s4, s10
	s_addc_u32 s5, s5, s11
	s_and_b32 s11, vcc_lo, s0
	s_mov_b32 s0, -1
	s_and_saveexec_b32 s10, s11
	s_cbranch_execz .LBB4_9
; %bb.6:
	v_dual_mov_b32 v5, v3 :: v_dual_and_b32 v4, -2, v2
	v_dual_mov_b32 v9, 0 :: v_dual_lshlrev_b32 v8, 1, v0
	s_mov_b32 s11, 0
	s_lshl_b32 s12, s3, 2
	s_delay_alu instid0(VALU_DEP_2)
	v_dual_mov_b32 v7, v5 :: v_dual_mov_b32 v6, v4
	s_mov_b32 s13, 0x3fb8aa3b
	s_mov_b32 s14, 0x32a5705f
.LBB4_7:                                ; =>This Inner Loop Header: Depth=1
	v_add_co_u32 v10, vcc_lo, s6, v8
	v_add_co_ci_u32_e32 v11, vcc_lo, s7, v9, vcc_lo
	v_add_co_u32 v12, vcc_lo, s1, v8
	v_add_co_ci_u32_e32 v13, vcc_lo, s2, v9, vcc_lo
	s_clause 0x1
	global_load_b32 v10, v[10:11], off
	global_load_b32 v12, v[12:13], off
	s_waitcnt vmcnt(1)
	v_lshrrev_b32_e32 v11, 16, v10
	v_cvt_f32_f16_e64 v13, -v10
	v_cvt_f32_f16_e32 v14, v10
	s_delay_alu instid0(VALU_DEP_3) | instskip(NEXT) | instid1(VALU_DEP_3)
	v_cvt_f32_f16_e64 v15, -v11
	v_mul_f32_e32 v16, 0x3fb8aa3b, v13
	v_cmp_ngt_f32_e32 vcc_lo, 0xc2ce8ed0, v13
	v_cvt_f32_f16_e32 v11, v11
	s_delay_alu instid0(VALU_DEP_4) | instskip(NEXT) | instid1(VALU_DEP_4)
	v_mul_f32_e32 v17, 0x3fb8aa3b, v15
	v_fma_mix_f32 v18, -v10, s13, -v16 op_sel_hi:[1,0,0]
	v_rndne_f32_e32 v19, v16
	v_cmp_ngt_f32_e64 s0, 0xc2ce8ed0, v15
	s_delay_alu instid0(VALU_DEP_4) | instskip(NEXT) | instid1(VALU_DEP_4)
	v_rndne_f32_e32 v21, v17
	v_fma_mix_f32 v18, -v10, s14, v18 op_sel_hi:[1,0,0]
	s_delay_alu instid0(VALU_DEP_4) | instskip(SKIP_2) | instid1(VALU_DEP_3)
	v_sub_f32_e32 v16, v16, v19
	v_fma_mix_f32 v20, -v10, s13, -v17 op_sel:[1,0,0] op_sel_hi:[1,0,0]
	v_cvt_i32_f32_e32 v19, v19
	v_dual_sub_f32 v17, v17, v21 :: v_dual_add_f32 v16, v16, v18
	s_delay_alu instid0(VALU_DEP_3) | instskip(SKIP_1) | instid1(VALU_DEP_3)
	v_fma_mix_f32 v10, -v10, s14, v20 op_sel:[1,0,0] op_sel_hi:[1,0,0]
	v_cvt_i32_f32_e32 v18, v21
	v_exp_f32_e32 v16, v16
	s_waitcnt_depctr 0xfff
	v_ldexp_f32 v16, v16, v19
	s_delay_alu instid0(VALU_DEP_1) | instskip(SKIP_1) | instid1(VALU_DEP_2)
	v_cndmask_b32_e32 v16, 0, v16, vcc_lo
	v_cmp_nlt_f32_e32 vcc_lo, 0x42b17218, v13
	v_dual_add_f32 v10, v17, v10 :: v_dual_cndmask_b32 v13, 0x7f800000, v16
	v_cmp_nlt_f32_e32 vcc_lo, 0x42b17218, v15
	s_delay_alu instid0(VALU_DEP_2) | instskip(NEXT) | instid1(VALU_DEP_2)
	v_exp_f32_e32 v10, v10
	v_add_f32_e32 v13, 1.0, v13
	s_delay_alu instid0(VALU_DEP_1) | instskip(SKIP_3) | instid1(VALU_DEP_1)
	v_div_scale_f32 v15, null, v13, v13, v14
	s_waitcnt_depctr 0xfff
	v_ldexp_f32 v10, v10, v18
	v_rcp_f32_e32 v19, v15
	v_cndmask_b32_e64 v10, 0, v10, s0
	v_div_scale_f32 v16, s0, v14, v13, v14
	s_waitcnt_depctr 0xfff
	v_fma_f32 v21, -v15, v19, 1.0
	s_delay_alu instid0(VALU_DEP_1) | instskip(NEXT) | instid1(VALU_DEP_1)
	v_dual_fmac_f32 v19, v21, v19 :: v_dual_cndmask_b32 v10, 0x7f800000, v10
	v_mul_f32_e32 v21, v16, v19
	s_delay_alu instid0(VALU_DEP_1) | instskip(NEXT) | instid1(VALU_DEP_1)
	v_fma_f32 v23, -v15, v21, v16
	v_dual_add_f32 v10, 1.0, v10 :: v_dual_fmac_f32 v21, v23, v19
	s_delay_alu instid0(VALU_DEP_1) | instskip(SKIP_1) | instid1(VALU_DEP_3)
	v_div_scale_f32 v17, null, v10, v10, v11
	v_div_scale_f32 v20, vcc_lo, v11, v10, v11
	v_fma_f32 v15, -v15, v21, v16
	s_delay_alu instid0(VALU_DEP_3) | instskip(SKIP_2) | instid1(VALU_DEP_1)
	v_rcp_f32_e32 v18, v17
	s_waitcnt_depctr 0xfff
	v_fma_f32 v22, -v17, v18, 1.0
	v_fmac_f32_e32 v18, v22, v18
	s_delay_alu instid0(VALU_DEP_1) | instskip(NEXT) | instid1(VALU_DEP_1)
	v_mul_f32_e32 v22, v20, v18
	v_fma_f32 v24, -v17, v22, v20
	s_delay_alu instid0(VALU_DEP_1) | instskip(NEXT) | instid1(VALU_DEP_1)
	v_fmac_f32_e32 v22, v24, v18
	v_fma_f32 v16, -v17, v22, v20
	s_delay_alu instid0(VALU_DEP_1) | instskip(SKIP_3) | instid1(VALU_DEP_3)
	v_div_fmas_f32 v16, v16, v18, v22
	s_mov_b32 vcc_lo, s0
	v_div_fmas_f32 v15, v15, v19, v21
	v_add_co_u32 v6, vcc_lo, v6, -2
	v_div_fixup_f32 v10, v16, v10, v11
	v_add_co_ci_u32_e32 v7, vcc_lo, -1, v7, vcc_lo
	s_delay_alu instid0(VALU_DEP_4) | instskip(NEXT) | instid1(VALU_DEP_3)
	v_div_fixup_f32 v11, v15, v13, v14
	v_cvt_f16_f32_e32 v13, v10
	v_add_co_u32 v10, vcc_lo, s4, v8
	s_delay_alu instid0(VALU_DEP_3) | instskip(SKIP_3) | instid1(VALU_DEP_4)
	v_cvt_f16_f32_e32 v14, v11
	v_add_co_ci_u32_e32 v11, vcc_lo, s5, v9, vcc_lo
	v_cmp_eq_u64_e32 vcc_lo, 0, v[6:7]
	v_add_co_u32 v8, s0, v8, s12
	v_pack_b32_f16 v13, v14, v13
	v_add_co_ci_u32_e64 v9, s0, 0, v9, s0
	s_or_b32 s11, vcc_lo, s11
	s_waitcnt vmcnt(0)
	s_delay_alu instid0(VALU_DEP_2)
	v_pk_mul_f16 v12, v12, v13
	global_store_b32 v[10:11], v12, off
	s_and_not1_b32 exec_lo, exec_lo, s11
	s_cbranch_execnz .LBB4_7
; %bb.8:
	s_or_b32 exec_lo, exec_lo, s11
	v_mad_u64_u32 v[6:7], null, v4, s3, v[0:1]
	v_cmp_ne_u64_e32 vcc_lo, v[2:3], v[4:5]
	s_or_not1_b32 s0, vcc_lo, exec_lo
	s_delay_alu instid0(VALU_DEP_2) | instskip(NEXT) | instid1(VALU_DEP_1)
	v_mov_b32_e32 v0, v7
	v_mad_u64_u32 v[7:8], null, v5, s3, v[0:1]
	s_delay_alu instid0(VALU_DEP_1)
	v_dual_mov_b32 v0, v6 :: v_dual_mov_b32 v1, v7
.LBB4_9:
	s_or_b32 exec_lo, exec_lo, s10
	s_delay_alu instid0(SALU_CYCLE_1)
	s_and_b32 exec_lo, exec_lo, s0
	s_cbranch_execz .LBB4_12
; %bb.10:
	s_delay_alu instid0(VALU_DEP_1)
	v_lshlrev_b64 v[2:3], 1, v[0:1]
	s_lshl_b32 s10, s3, 1
	s_mov_b32 s11, 0
	s_mov_b32 s12, 0x3fb8aa3b
	;; [unrolled: 1-line block ×3, first 2 shown]
.LBB4_11:                               ; =>This Inner Loop Header: Depth=1
	s_delay_alu instid0(VALU_DEP_1)
	v_add_co_u32 v4, vcc_lo, s6, v2
	v_add_co_ci_u32_e32 v5, vcc_lo, s7, v3, vcc_lo
	v_add_co_u32 v6, vcc_lo, s1, v2
	v_add_co_ci_u32_e32 v7, vcc_lo, s2, v3, vcc_lo
	s_clause 0x1
	global_load_u16 v4, v[4:5], off
	global_load_u16 v6, v[6:7], off
	s_waitcnt vmcnt(1)
	v_cvt_f32_f16_e64 v5, -v4
	s_delay_alu instid0(VALU_DEP_1) | instskip(SKIP_1) | instid1(VALU_DEP_2)
	v_mul_f32_e32 v7, 0x3fb8aa3b, v5
	v_cmp_ngt_f32_e32 vcc_lo, 0xc2ce8ed0, v5
	v_fma_mix_f32 v8, -v4, s12, -v7 op_sel_hi:[1,0,0]
	v_rndne_f32_e32 v9, v7
	s_delay_alu instid0(VALU_DEP_2) | instskip(NEXT) | instid1(VALU_DEP_2)
	v_fma_mix_f32 v8, -v4, s13, v8 op_sel_hi:[1,0,0]
	v_sub_f32_e32 v7, v7, v9
	v_cvt_f32_f16_e32 v4, v4
	s_delay_alu instid0(VALU_DEP_2) | instskip(SKIP_1) | instid1(VALU_DEP_2)
	v_add_f32_e32 v7, v7, v8
	v_cvt_i32_f32_e32 v8, v9
	v_exp_f32_e32 v7, v7
	s_waitcnt_depctr 0xfff
	v_ldexp_f32 v7, v7, v8
	s_delay_alu instid0(VALU_DEP_1) | instskip(SKIP_1) | instid1(VALU_DEP_2)
	v_cndmask_b32_e32 v7, 0, v7, vcc_lo
	v_cmp_nlt_f32_e32 vcc_lo, 0x42b17218, v5
	v_cndmask_b32_e32 v5, 0x7f800000, v7, vcc_lo
	s_delay_alu instid0(VALU_DEP_1) | instskip(NEXT) | instid1(VALU_DEP_1)
	v_add_f32_e32 v5, 1.0, v5
	v_div_scale_f32 v7, null, v5, v5, v4
	v_div_scale_f32 v10, vcc_lo, v4, v5, v4
	s_delay_alu instid0(VALU_DEP_2) | instskip(SKIP_2) | instid1(VALU_DEP_1)
	v_rcp_f32_e32 v8, v7
	s_waitcnt_depctr 0xfff
	v_fma_f32 v9, -v7, v8, 1.0
	v_fmac_f32_e32 v8, v9, v8
	s_delay_alu instid0(VALU_DEP_1) | instskip(NEXT) | instid1(VALU_DEP_1)
	v_mul_f32_e32 v9, v10, v8
	v_fma_f32 v11, -v7, v9, v10
	s_delay_alu instid0(VALU_DEP_1) | instskip(NEXT) | instid1(VALU_DEP_1)
	v_fmac_f32_e32 v9, v11, v8
	v_fma_f32 v7, -v7, v9, v10
	s_delay_alu instid0(VALU_DEP_1) | instskip(SKIP_2) | instid1(VALU_DEP_3)
	v_div_fmas_f32 v7, v7, v8, v9
	v_add_co_u32 v0, vcc_lo, v0, s3
	v_add_co_ci_u32_e32 v1, vcc_lo, 0, v1, vcc_lo
	v_div_fixup_f32 v7, v7, v5, v4
	v_add_co_u32 v4, vcc_lo, s4, v2
	v_add_co_ci_u32_e32 v5, vcc_lo, s5, v3, vcc_lo
	s_delay_alu instid0(VALU_DEP_3) | instskip(SKIP_2) | instid1(VALU_DEP_1)
	v_cvt_f16_f32_e32 v7, v7
	v_cmp_le_i64_e32 vcc_lo, s[8:9], v[0:1]
	v_add_co_u32 v2, s0, v2, s10
	v_add_co_ci_u32_e64 v3, s0, 0, v3, s0
	s_waitcnt vmcnt(0)
	v_mul_f16_e32 v6, v6, v7
	s_or_b32 s11, vcc_lo, s11
	global_store_b16 v[4:5], v6, off
	s_and_not1_b32 exec_lo, exec_lo, s11
	s_cbranch_execnz .LBB4_11
.LBB4_12:
	s_nop 0
	s_sendmsg sendmsg(MSG_DEALLOC_VGPRS)
	s_endpgm
	.section	.rodata,"a",@progbits
	.p2align	6, 0x0
	.amdhsa_kernel _ZN4vllm18act_and_mul_kernelIN3c104HalfETnPFT_RKS3_EXadL_ZNS_11silu_kernelIS2_EES3_S5_EELb0EEEvPS3_PS4_i
		.amdhsa_group_segment_fixed_size 0
		.amdhsa_private_segment_fixed_size 0
		.amdhsa_kernarg_size 280
		.amdhsa_user_sgpr_count 15
		.amdhsa_user_sgpr_dispatch_ptr 0
		.amdhsa_user_sgpr_queue_ptr 0
		.amdhsa_user_sgpr_kernarg_segment_ptr 1
		.amdhsa_user_sgpr_dispatch_id 0
		.amdhsa_user_sgpr_private_segment_size 0
		.amdhsa_wavefront_size32 1
		.amdhsa_uses_dynamic_stack 0
		.amdhsa_enable_private_segment 0
		.amdhsa_system_sgpr_workgroup_id_x 1
		.amdhsa_system_sgpr_workgroup_id_y 0
		.amdhsa_system_sgpr_workgroup_id_z 0
		.amdhsa_system_sgpr_workgroup_info 0
		.amdhsa_system_vgpr_workitem_id 0
		.amdhsa_next_free_vgpr 25
		.amdhsa_next_free_sgpr 16
		.amdhsa_reserve_vcc 1
		.amdhsa_float_round_mode_32 0
		.amdhsa_float_round_mode_16_64 0
		.amdhsa_float_denorm_mode_32 3
		.amdhsa_float_denorm_mode_16_64 3
		.amdhsa_dx10_clamp 1
		.amdhsa_ieee_mode 1
		.amdhsa_fp16_overflow 0
		.amdhsa_workgroup_processor_mode 1
		.amdhsa_memory_ordered 1
		.amdhsa_forward_progress 0
		.amdhsa_shared_vgpr_count 0
		.amdhsa_exception_fp_ieee_invalid_op 0
		.amdhsa_exception_fp_denorm_src 0
		.amdhsa_exception_fp_ieee_div_zero 0
		.amdhsa_exception_fp_ieee_overflow 0
		.amdhsa_exception_fp_ieee_underflow 0
		.amdhsa_exception_fp_ieee_inexact 0
		.amdhsa_exception_int_div_zero 0
	.end_amdhsa_kernel
	.section	.text._ZN4vllm18act_and_mul_kernelIN3c104HalfETnPFT_RKS3_EXadL_ZNS_11silu_kernelIS2_EES3_S5_EELb0EEEvPS3_PS4_i,"axG",@progbits,_ZN4vllm18act_and_mul_kernelIN3c104HalfETnPFT_RKS3_EXadL_ZNS_11silu_kernelIS2_EES3_S5_EELb0EEEvPS3_PS4_i,comdat
.Lfunc_end4:
	.size	_ZN4vllm18act_and_mul_kernelIN3c104HalfETnPFT_RKS3_EXadL_ZNS_11silu_kernelIS2_EES3_S5_EELb0EEEvPS3_PS4_i, .Lfunc_end4-_ZN4vllm18act_and_mul_kernelIN3c104HalfETnPFT_RKS3_EXadL_ZNS_11silu_kernelIS2_EES3_S5_EELb0EEEvPS3_PS4_i
                                        ; -- End function
	.section	.AMDGPU.csdata,"",@progbits
; Kernel info:
; codeLenInByte = 2196
; NumSgprs: 18
; NumVgprs: 25
; ScratchSize: 0
; MemoryBound: 0
; FloatMode: 240
; IeeeMode: 1
; LDSByteSize: 0 bytes/workgroup (compile time only)
; SGPRBlocks: 2
; VGPRBlocks: 3
; NumSGPRsForWavesPerEU: 18
; NumVGPRsForWavesPerEU: 25
; Occupancy: 16
; WaveLimiterHint : 0
; COMPUTE_PGM_RSRC2:SCRATCH_EN: 0
; COMPUTE_PGM_RSRC2:USER_SGPR: 15
; COMPUTE_PGM_RSRC2:TRAP_HANDLER: 0
; COMPUTE_PGM_RSRC2:TGID_X_EN: 1
; COMPUTE_PGM_RSRC2:TGID_Y_EN: 0
; COMPUTE_PGM_RSRC2:TGID_Z_EN: 0
; COMPUTE_PGM_RSRC2:TIDIG_COMP_CNT: 0
	.section	.text._ZN4vllm18act_and_mul_kernelIN3c108BFloat16ETnPFT_RKS3_EXadL_ZNS_11silu_kernelIS2_EES3_S5_EELb0EEEvPS3_PS4_i,"axG",@progbits,_ZN4vllm18act_and_mul_kernelIN3c108BFloat16ETnPFT_RKS3_EXadL_ZNS_11silu_kernelIS2_EES3_S5_EELb0EEEvPS3_PS4_i,comdat
	.protected	_ZN4vllm18act_and_mul_kernelIN3c108BFloat16ETnPFT_RKS3_EXadL_ZNS_11silu_kernelIS2_EES3_S5_EELb0EEEvPS3_PS4_i ; -- Begin function _ZN4vllm18act_and_mul_kernelIN3c108BFloat16ETnPFT_RKS3_EXadL_ZNS_11silu_kernelIS2_EES3_S5_EELb0EEEvPS3_PS4_i
	.globl	_ZN4vllm18act_and_mul_kernelIN3c108BFloat16ETnPFT_RKS3_EXadL_ZNS_11silu_kernelIS2_EES3_S5_EELb0EEEvPS3_PS4_i
	.p2align	8
	.type	_ZN4vllm18act_and_mul_kernelIN3c108BFloat16ETnPFT_RKS3_EXadL_ZNS_11silu_kernelIS2_EES3_S5_EELb0EEEvPS3_PS4_i,@function
_ZN4vllm18act_and_mul_kernelIN3c108BFloat16ETnPFT_RKS3_EXadL_ZNS_11silu_kernelIS2_EES3_S5_EELb0EEEvPS3_PS4_i: ; @_ZN4vllm18act_and_mul_kernelIN3c108BFloat16ETnPFT_RKS3_EXadL_ZNS_11silu_kernelIS2_EES3_S5_EELb0EEEvPS3_PS4_i
; %bb.0:
	s_load_b32 s8, s[0:1], 0x10
	s_mov_b32 s2, exec_lo
	s_waitcnt lgkmcnt(0)
	v_cmpx_gt_i32_e64 s8, v0
	s_cbranch_execz .LBB5_12
; %bb.1:
	s_clause 0x1
	s_load_b32 s2, s[0:1], 0x24
	s_load_b128 s[4:7], s[0:1], 0x0
	s_ashr_i32 s9, s8, 31
	s_mov_b32 s0, exec_lo
	s_waitcnt lgkmcnt(0)
	s_and_b32 s3, s2, 0xffff
	s_delay_alu instid0(SALU_CYCLE_1) | instskip(NEXT) | instid1(VALU_DEP_1)
	v_add_co_u32 v1, s2, v0, s3
	v_add_co_ci_u32_e64 v2, null, 0, 0, s2
	s_delay_alu instid0(VALU_DEP_1) | instskip(SKIP_1) | instid1(VALU_DEP_2)
	v_cmp_gt_i64_e64 s2, s[8:9], v[1:2]
	v_cmp_lt_i64_e32 vcc_lo, s[8:9], v[1:2]
	v_cndmask_b32_e64 v6, 0, 1, s2
	v_cndmask_b32_e32 v3, s9, v2, vcc_lo
	v_cndmask_b32_e32 v4, s8, v1, vcc_lo
	s_delay_alu instid0(VALU_DEP_3) | instskip(SKIP_2) | instid1(VALU_DEP_3)
	v_add_co_u32 v5, vcc_lo, v1, v6
	v_mov_b32_e32 v1, 0
	v_add_co_ci_u32_e32 v2, vcc_lo, 0, v2, vcc_lo
	v_sub_co_u32 v7, vcc_lo, v4, v5
                                        ; implicit-def: $vgpr4_vgpr5
	s_delay_alu instid0(VALU_DEP_2) | instskip(NEXT) | instid1(VALU_DEP_4)
	v_sub_co_ci_u32_e32 v3, vcc_lo, v3, v2, vcc_lo
	v_mov_b32_e32 v2, v1
	s_delay_alu instid0(VALU_DEP_1)
	v_cmpx_ne_u64_e32 0, v[2:3]
	s_xor_b32 s1, exec_lo, s0
	s_cbranch_execz .LBB5_3
; %bb.2:
	v_cvt_f32_u32_e32 v2, s3
	s_sub_u32 s0, 0, s3
	s_subb_u32 s2, 0, 0
	s_delay_alu instid0(VALU_DEP_1) | instskip(NEXT) | instid1(VALU_DEP_1)
	v_fmamk_f32 v2, 0, 0x4f800000, v2
	v_rcp_f32_e32 v2, v2
	s_waitcnt_depctr 0xfff
	v_mul_f32_e32 v2, 0x5f7ffffc, v2
	s_delay_alu instid0(VALU_DEP_1) | instskip(NEXT) | instid1(VALU_DEP_1)
	v_mul_f32_e32 v4, 0x2f800000, v2
	v_trunc_f32_e32 v4, v4
	s_delay_alu instid0(VALU_DEP_1) | instskip(SKIP_1) | instid1(VALU_DEP_2)
	v_fmamk_f32 v2, v4, 0xcf800000, v2
	v_cvt_u32_f32_e32 v4, v4
	v_cvt_u32_f32_e32 v2, v2
	s_delay_alu instid0(VALU_DEP_2) | instskip(NEXT) | instid1(VALU_DEP_2)
	v_mul_lo_u32 v5, s0, v4
	v_mul_hi_u32 v8, s0, v2
	v_mul_lo_u32 v9, s2, v2
	s_delay_alu instid0(VALU_DEP_2) | instskip(SKIP_1) | instid1(VALU_DEP_2)
	v_add_nc_u32_e32 v5, v8, v5
	v_mul_lo_u32 v8, s0, v2
	v_add_nc_u32_e32 v5, v5, v9
	s_delay_alu instid0(VALU_DEP_2) | instskip(NEXT) | instid1(VALU_DEP_2)
	v_mul_hi_u32 v9, v2, v8
	v_mul_lo_u32 v10, v2, v5
	v_mul_hi_u32 v11, v2, v5
	v_mul_hi_u32 v12, v4, v8
	v_mul_lo_u32 v8, v4, v8
	v_mul_hi_u32 v13, v4, v5
	v_mul_lo_u32 v5, v4, v5
	v_add_co_u32 v9, vcc_lo, v9, v10
	v_add_co_ci_u32_e32 v10, vcc_lo, 0, v11, vcc_lo
	s_delay_alu instid0(VALU_DEP_2) | instskip(NEXT) | instid1(VALU_DEP_2)
	v_add_co_u32 v8, vcc_lo, v9, v8
	v_add_co_ci_u32_e32 v8, vcc_lo, v10, v12, vcc_lo
	v_add_co_ci_u32_e32 v9, vcc_lo, 0, v13, vcc_lo
	s_delay_alu instid0(VALU_DEP_2) | instskip(NEXT) | instid1(VALU_DEP_2)
	v_add_co_u32 v5, vcc_lo, v8, v5
	v_add_co_ci_u32_e32 v8, vcc_lo, 0, v9, vcc_lo
	s_delay_alu instid0(VALU_DEP_2) | instskip(NEXT) | instid1(VALU_DEP_2)
	v_add_co_u32 v2, vcc_lo, v2, v5
	v_add_co_ci_u32_e32 v4, vcc_lo, v4, v8, vcc_lo
	s_delay_alu instid0(VALU_DEP_2) | instskip(SKIP_1) | instid1(VALU_DEP_3)
	v_mul_hi_u32 v5, s0, v2
	v_mul_lo_u32 v9, s2, v2
	v_mul_lo_u32 v8, s0, v4
	s_delay_alu instid0(VALU_DEP_1) | instskip(SKIP_1) | instid1(VALU_DEP_2)
	v_add_nc_u32_e32 v5, v5, v8
	v_mul_lo_u32 v8, s0, v2
	v_add_nc_u32_e32 v5, v5, v9
	s_delay_alu instid0(VALU_DEP_2) | instskip(NEXT) | instid1(VALU_DEP_2)
	v_mul_hi_u32 v9, v2, v8
	v_mul_lo_u32 v10, v2, v5
	v_mul_hi_u32 v11, v2, v5
	v_mul_hi_u32 v12, v4, v8
	v_mul_lo_u32 v8, v4, v8
	v_mul_hi_u32 v13, v4, v5
	v_mul_lo_u32 v5, v4, v5
	v_add_co_u32 v9, vcc_lo, v9, v10
	v_add_co_ci_u32_e32 v10, vcc_lo, 0, v11, vcc_lo
	s_delay_alu instid0(VALU_DEP_2) | instskip(NEXT) | instid1(VALU_DEP_2)
	v_add_co_u32 v8, vcc_lo, v9, v8
	v_add_co_ci_u32_e32 v8, vcc_lo, v10, v12, vcc_lo
	v_add_co_ci_u32_e32 v9, vcc_lo, 0, v13, vcc_lo
	s_delay_alu instid0(VALU_DEP_2) | instskip(NEXT) | instid1(VALU_DEP_2)
	v_add_co_u32 v5, vcc_lo, v8, v5
	v_add_co_ci_u32_e32 v8, vcc_lo, 0, v9, vcc_lo
	s_delay_alu instid0(VALU_DEP_2) | instskip(NEXT) | instid1(VALU_DEP_2)
	v_add_co_u32 v2, vcc_lo, v2, v5
	v_add_co_ci_u32_e32 v12, vcc_lo, v4, v8, vcc_lo
	s_delay_alu instid0(VALU_DEP_2) | instskip(SKIP_1) | instid1(VALU_DEP_3)
	v_mul_hi_u32 v13, v7, v2
	v_mad_u64_u32 v[8:9], null, v3, v2, 0
	v_mad_u64_u32 v[4:5], null, v7, v12, 0
	;; [unrolled: 1-line block ×3, first 2 shown]
	s_delay_alu instid0(VALU_DEP_2) | instskip(NEXT) | instid1(VALU_DEP_3)
	v_add_co_u32 v2, vcc_lo, v13, v4
	v_add_co_ci_u32_e32 v4, vcc_lo, 0, v5, vcc_lo
	s_delay_alu instid0(VALU_DEP_2) | instskip(NEXT) | instid1(VALU_DEP_2)
	v_add_co_u32 v2, vcc_lo, v2, v8
	v_add_co_ci_u32_e32 v2, vcc_lo, v4, v9, vcc_lo
	v_add_co_ci_u32_e32 v4, vcc_lo, 0, v11, vcc_lo
	s_delay_alu instid0(VALU_DEP_2) | instskip(NEXT) | instid1(VALU_DEP_2)
	v_add_co_u32 v10, vcc_lo, v2, v10
	v_add_co_ci_u32_e32 v11, vcc_lo, 0, v4, vcc_lo
	s_delay_alu instid0(VALU_DEP_2) | instskip(NEXT) | instid1(VALU_DEP_1)
	v_mad_u64_u32 v[4:5], null, s3, v10, 0
	v_mov_b32_e32 v2, v5
	s_delay_alu instid0(VALU_DEP_1) | instskip(NEXT) | instid1(VALU_DEP_3)
	v_mad_u64_u32 v[8:9], null, s3, v11, v[2:3]
	v_sub_co_u32 v2, vcc_lo, v7, v4
	s_delay_alu instid0(VALU_DEP_2) | instskip(NEXT) | instid1(VALU_DEP_2)
	v_sub_co_ci_u32_e32 v3, vcc_lo, v3, v8, vcc_lo
	v_sub_co_u32 v4, vcc_lo, v2, s3
	s_delay_alu instid0(VALU_DEP_2) | instskip(NEXT) | instid1(VALU_DEP_2)
	v_subrev_co_ci_u32_e32 v5, vcc_lo, 0, v3, vcc_lo
	v_cmp_le_u32_e32 vcc_lo, s3, v4
	v_cmp_eq_u32_e64 s0, 0, v3
	v_cndmask_b32_e64 v4, 0, -1, vcc_lo
	v_add_co_u32 v7, vcc_lo, v10, 2
	v_add_co_ci_u32_e32 v8, vcc_lo, 0, v11, vcc_lo
	v_cmp_le_u32_e32 vcc_lo, s3, v2
	v_cndmask_b32_e64 v2, 0, -1, vcc_lo
	v_cmp_eq_u32_e32 vcc_lo, 0, v5
	s_delay_alu instid0(VALU_DEP_2) | instskip(SKIP_3) | instid1(VALU_DEP_3)
	v_cndmask_b32_e64 v2, -1, v2, s0
	v_cndmask_b32_e32 v4, -1, v4, vcc_lo
	v_add_co_u32 v5, vcc_lo, v10, 1
	v_add_co_ci_u32_e32 v9, vcc_lo, 0, v11, vcc_lo
	v_cmp_ne_u32_e32 vcc_lo, 0, v4
	s_delay_alu instid0(VALU_DEP_2) | instskip(NEXT) | instid1(VALU_DEP_4)
	v_cndmask_b32_e32 v3, v9, v8, vcc_lo
	v_cndmask_b32_e32 v4, v5, v7, vcc_lo
	v_cmp_ne_u32_e32 vcc_lo, 0, v2
                                        ; implicit-def: $vgpr7
	s_delay_alu instid0(VALU_DEP_2)
	v_dual_cndmask_b32 v5, v11, v3 :: v_dual_cndmask_b32 v4, v10, v4
.LBB5_3:
	s_and_not1_saveexec_b32 s0, s1
	s_cbranch_execz .LBB5_5
; %bb.4:
	v_cvt_f32_u32_e32 v2, s3
	s_sub_i32 s1, 0, s3
	s_delay_alu instid0(VALU_DEP_1) | instskip(SKIP_2) | instid1(VALU_DEP_1)
	v_rcp_iflag_f32_e32 v2, v2
	s_waitcnt_depctr 0xfff
	v_mul_f32_e32 v2, 0x4f7ffffe, v2
	v_cvt_u32_f32_e32 v2, v2
	s_delay_alu instid0(VALU_DEP_1) | instskip(NEXT) | instid1(VALU_DEP_1)
	v_mul_lo_u32 v3, s1, v2
	v_mul_hi_u32 v3, v2, v3
	s_delay_alu instid0(VALU_DEP_1) | instskip(NEXT) | instid1(VALU_DEP_1)
	v_add_nc_u32_e32 v2, v2, v3
	v_mul_hi_u32 v2, v7, v2
	s_delay_alu instid0(VALU_DEP_1) | instskip(SKIP_1) | instid1(VALU_DEP_2)
	v_mul_lo_u32 v3, v2, s3
	v_add_nc_u32_e32 v4, 1, v2
	v_sub_nc_u32_e32 v3, v7, v3
	s_delay_alu instid0(VALU_DEP_1) | instskip(SKIP_1) | instid1(VALU_DEP_2)
	v_subrev_nc_u32_e32 v5, s3, v3
	v_cmp_le_u32_e32 vcc_lo, s3, v3
	v_cndmask_b32_e32 v3, v3, v5, vcc_lo
	v_dual_mov_b32 v5, 0 :: v_dual_cndmask_b32 v2, v2, v4
	s_delay_alu instid0(VALU_DEP_2) | instskip(NEXT) | instid1(VALU_DEP_2)
	v_cmp_le_u32_e32 vcc_lo, s3, v3
	v_add_nc_u32_e32 v4, 1, v2
	s_delay_alu instid0(VALU_DEP_1)
	v_cndmask_b32_e32 v4, v2, v4, vcc_lo
.LBB5_5:
	s_or_b32 exec_lo, exec_lo, s0
	s_delay_alu instid0(VALU_DEP_1)
	v_add_co_u32 v2, vcc_lo, v4, v6
	v_add_co_ci_u32_e32 v3, vcc_lo, 0, v5, vcc_lo
	s_mul_i32 s1, s15, s9
	s_mul_hi_u32 s2, s15, s8
	s_mul_i32 s0, s15, s8
	s_add_i32 s1, s2, s1
	v_add_co_u32 v2, vcc_lo, v2, 1
	s_lshl_b64 s[10:11], s[0:1], 2
	v_add_co_ci_u32_e32 v3, vcc_lo, 0, v3, vcc_lo
	s_add_u32 s2, s6, s10
	s_addc_u32 s6, s7, s11
	s_lshl_b64 s[10:11], s[8:9], 1
	s_delay_alu instid0(VALU_DEP_1) | instskip(SKIP_4) | instid1(SALU_CYCLE_1)
	v_cmp_lt_u64_e32 vcc_lo, 1, v[2:3]
	s_add_u32 s7, s2, s10
	s_addc_u32 s10, s6, s11
	v_cmp_eq_u16_e64 s11, s3, 1
	s_lshl_b64 s[0:1], s[0:1], 1
	s_add_u32 s4, s4, s0
	s_addc_u32 s5, s5, s1
	s_delay_alu instid0(VALU_DEP_1)
	s_and_b32 s11, vcc_lo, s11
	s_mov_b32 s0, -1
	s_and_saveexec_b32 s1, s11
	s_cbranch_execz .LBB5_9
; %bb.6:
	v_dual_mov_b32 v5, v3 :: v_dual_and_b32 v4, -2, v2
	v_dual_mov_b32 v9, 0 :: v_dual_lshlrev_b32 v8, 1, v0
	s_mov_b32 s11, 0
	s_lshl_b32 s12, s3, 2
	s_delay_alu instid0(VALU_DEP_2)
	v_dual_mov_b32 v7, v5 :: v_dual_mov_b32 v6, v4
.LBB5_7:                                ; =>This Inner Loop Header: Depth=1
	s_delay_alu instid0(VALU_DEP_2)
	v_add_co_u32 v10, vcc_lo, s7, v8
	v_add_co_ci_u32_e32 v11, vcc_lo, s10, v9, vcc_lo
	v_add_co_u32 v12, vcc_lo, s2, v8
	v_add_co_ci_u32_e32 v13, vcc_lo, s6, v9, vcc_lo
	s_clause 0x1
	global_load_b32 v10, v[10:11], off
	global_load_b32 v11, v[12:13], off
	s_waitcnt vmcnt(1)
	v_and_b32_e32 v12, 0xffff0000, v10
	s_delay_alu instid0(VALU_DEP_1) | instskip(SKIP_1) | instid1(VALU_DEP_2)
	v_xor_b32_e32 v13, 0x80000000, v12
	v_cmp_o_f32_e64 s0, v12, v12
	v_bfe_u32 v15, v13, 16, 1
	s_delay_alu instid0(VALU_DEP_1) | instskip(NEXT) | instid1(VALU_DEP_1)
	v_add3_u32 v13, v13, v15, 0x7fff
	v_and_b32_e32 v13, 0xffff0000, v13
	s_delay_alu instid0(VALU_DEP_1) | instskip(NEXT) | instid1(VALU_DEP_1)
	v_cndmask_b32_e64 v13, 0x7fc00000, v13, s0
	v_dual_mul_f32 v15, 0x3fb8aa3b, v13 :: v_dual_lshlrev_b32 v10, 16, v10
	s_delay_alu instid0(VALU_DEP_1) | instskip(SKIP_2) | instid1(VALU_DEP_4)
	v_xor_b32_e32 v14, 0x80000000, v10
	v_cmp_ngt_f32_e64 s0, 0xc2ce8ed0, v13
	v_cmp_o_f32_e32 vcc_lo, v10, v10
	v_fma_f32 v17, 0x3fb8aa3b, v13, -v15
	v_rndne_f32_e32 v18, v15
	v_bfe_u32 v16, v14, 16, 1
	s_delay_alu instid0(VALU_DEP_3) | instskip(NEXT) | instid1(VALU_DEP_3)
	v_fmac_f32_e32 v17, 0x32a5705f, v13
	v_sub_f32_e32 v15, v15, v18
	s_delay_alu instid0(VALU_DEP_3) | instskip(NEXT) | instid1(VALU_DEP_2)
	v_add3_u32 v14, v14, v16, 0x7fff
	v_add_f32_e32 v15, v15, v17
	v_cvt_i32_f32_e32 v17, v18
	s_delay_alu instid0(VALU_DEP_2) | instskip(SKIP_2) | instid1(VALU_DEP_1)
	v_exp_f32_e32 v15, v15
	s_waitcnt_depctr 0xfff
	v_ldexp_f32 v15, v15, v17
	v_cndmask_b32_e64 v15, 0, v15, s0
	v_cmp_nlt_f32_e64 s0, 0x42b17218, v13
	s_delay_alu instid0(VALU_DEP_1) | instskip(NEXT) | instid1(VALU_DEP_1)
	v_cndmask_b32_e64 v13, 0x7f800000, v15, s0
	v_dual_add_f32 v13, 1.0, v13 :: v_dual_and_b32 v14, 0xffff0000, v14
	s_delay_alu instid0(VALU_DEP_1) | instskip(NEXT) | instid1(VALU_DEP_1)
	v_div_scale_f32 v15, null, v13, v13, v12
	v_rcp_f32_e32 v17, v15
	s_waitcnt_depctr 0xfff
	v_fma_f32 v21, -v15, v17, 1.0
	s_delay_alu instid0(VALU_DEP_1) | instskip(NEXT) | instid1(VALU_DEP_1)
	v_dual_cndmask_b32 v14, 0x7fc00000, v14 :: v_dual_fmac_f32 v17, v21, v17
	v_mul_f32_e32 v16, 0x3fb8aa3b, v14
	v_cmp_ngt_f32_e32 vcc_lo, 0xc2ce8ed0, v14
	s_delay_alu instid0(VALU_DEP_2) | instskip(SKIP_1) | instid1(VALU_DEP_1)
	v_fma_f32 v19, 0x3fb8aa3b, v14, -v16
	v_rndne_f32_e32 v20, v16
	v_dual_fmac_f32 v19, 0x32a5705f, v14 :: v_dual_sub_f32 v16, v16, v20
	v_cvt_i32_f32_e32 v18, v20
	s_delay_alu instid0(VALU_DEP_2) | instskip(NEXT) | instid1(VALU_DEP_1)
	v_add_f32_e32 v16, v16, v19
	v_exp_f32_e32 v16, v16
	s_waitcnt_depctr 0xfff
	v_ldexp_f32 v16, v16, v18
	s_delay_alu instid0(VALU_DEP_1) | instskip(SKIP_1) | instid1(VALU_DEP_2)
	v_cndmask_b32_e32 v16, 0, v16, vcc_lo
	v_cmp_nlt_f32_e32 vcc_lo, 0x42b17218, v14
	v_cndmask_b32_e32 v14, 0x7f800000, v16, vcc_lo
	v_div_scale_f32 v19, vcc_lo, v12, v13, v12
	s_delay_alu instid0(VALU_DEP_1) | instskip(NEXT) | instid1(VALU_DEP_1)
	v_mul_f32_e32 v21, v19, v17
	v_fma_f32 v23, -v15, v21, v19
	s_delay_alu instid0(VALU_DEP_1) | instskip(NEXT) | instid1(VALU_DEP_1)
	v_dual_fmac_f32 v21, v23, v17 :: v_dual_add_f32 v14, 1.0, v14
	v_fma_f32 v15, -v15, v21, v19
	s_delay_alu instid0(VALU_DEP_1) | instskip(NEXT) | instid1(VALU_DEP_1)
	v_div_fmas_f32 v15, v15, v17, v21
	v_div_fixup_f32 v12, v15, v13, v12
	s_waitcnt vmcnt(0)
	v_and_b32_e32 v15, 0xffff0000, v11
	v_div_scale_f32 v16, null, v14, v14, v10
	v_div_scale_f32 v20, s0, v10, v14, v10
	v_bfe_u32 v13, v12, 16, 1
	s_delay_alu instid0(VALU_DEP_3) | instskip(SKIP_2) | instid1(VALU_DEP_2)
	v_rcp_f32_e32 v18, v16
	s_mov_b32 vcc_lo, s0
	v_lshlrev_b32_e32 v11, 16, v11
	v_add3_u32 v13, v12, v13, 0x7fff
	s_delay_alu instid0(VALU_DEP_1) | instskip(SKIP_2) | instid1(VALU_DEP_1)
	v_and_b32_e32 v13, 0xffff0000, v13
	s_waitcnt_depctr 0xfff
	v_fma_f32 v22, -v16, v18, 1.0
	v_fmac_f32_e32 v18, v22, v18
	s_delay_alu instid0(VALU_DEP_1) | instskip(NEXT) | instid1(VALU_DEP_1)
	v_mul_f32_e32 v22, v20, v18
	v_fma_f32 v24, -v16, v22, v20
	s_delay_alu instid0(VALU_DEP_1) | instskip(NEXT) | instid1(VALU_DEP_1)
	v_fmac_f32_e32 v22, v24, v18
	v_fma_f32 v16, -v16, v22, v20
	s_delay_alu instid0(VALU_DEP_1) | instskip(SKIP_1) | instid1(VALU_DEP_2)
	v_div_fmas_f32 v16, v16, v18, v22
	v_cmp_o_f32_e32 vcc_lo, v12, v12
	v_div_fixup_f32 v10, v16, v14, v10
	v_cndmask_b32_e32 v12, 0x7fc00000, v13, vcc_lo
	s_delay_alu instid0(VALU_DEP_2) | instskip(SKIP_1) | instid1(VALU_DEP_3)
	v_bfe_u32 v14, v10, 16, 1
	v_cmp_o_f32_e64 s0, v10, v10
	v_mul_f32_e32 v12, v12, v15
	s_delay_alu instid0(VALU_DEP_3) | instskip(SKIP_1) | instid1(VALU_DEP_2)
	v_add3_u32 v14, v10, v14, 0x7fff
	v_add_co_u32 v10, vcc_lo, s4, v8
	v_and_b32_e32 v14, 0xffff0000, v14
	s_delay_alu instid0(VALU_DEP_1) | instskip(SKIP_1) | instid1(VALU_DEP_2)
	v_cndmask_b32_e64 v13, 0x7fc00000, v14, s0
	v_bfe_u32 v14, v12, 16, 1
	v_mul_f32_e32 v13, v13, v11
	s_delay_alu instid0(VALU_DEP_2) | instskip(SKIP_2) | instid1(VALU_DEP_4)
	v_add3_u32 v14, v12, v14, 0x7fff
	v_add_co_ci_u32_e32 v11, vcc_lo, s5, v9, vcc_lo
	v_add_co_u32 v6, vcc_lo, v6, -2
	v_bfe_u32 v15, v13, 16, 1
	v_add_co_ci_u32_e32 v7, vcc_lo, -1, v7, vcc_lo
	v_lshrrev_b32_e32 v14, 16, v14
	v_cmp_o_f32_e32 vcc_lo, v12, v12
	s_delay_alu instid0(VALU_DEP_4) | instskip(SKIP_1) | instid1(VALU_DEP_4)
	v_add3_u32 v15, v13, v15, 0x7fff
	v_cmp_o_f32_e64 s0, v13, v13
	v_cndmask_b32_e32 v12, 0x7fc0, v14, vcc_lo
	s_delay_alu instid0(VALU_DEP_3) | instskip(SKIP_1) | instid1(VALU_DEP_2)
	v_lshrrev_b32_e32 v15, 16, v15
	v_cmp_eq_u64_e32 vcc_lo, 0, v[6:7]
	v_cndmask_b32_e64 v13, 0x7fc0, v15, s0
	v_add_co_u32 v8, s0, v8, s12
	s_delay_alu instid0(VALU_DEP_1) | instskip(NEXT) | instid1(VALU_DEP_3)
	v_add_co_ci_u32_e64 v9, s0, 0, v9, s0
	v_perm_b32 v12, v12, v13, 0x5040100
	s_or_b32 s11, vcc_lo, s11
	global_store_b32 v[10:11], v12, off
	s_and_not1_b32 exec_lo, exec_lo, s11
	s_cbranch_execnz .LBB5_7
; %bb.8:
	s_or_b32 exec_lo, exec_lo, s11
	v_mad_u64_u32 v[6:7], null, v4, s3, v[0:1]
	v_cmp_ne_u64_e32 vcc_lo, v[2:3], v[4:5]
	s_or_not1_b32 s0, vcc_lo, exec_lo
	s_delay_alu instid0(VALU_DEP_2) | instskip(NEXT) | instid1(VALU_DEP_1)
	v_mov_b32_e32 v0, v7
	v_mad_u64_u32 v[7:8], null, v5, s3, v[0:1]
	s_delay_alu instid0(VALU_DEP_1)
	v_dual_mov_b32 v0, v6 :: v_dual_mov_b32 v1, v7
.LBB5_9:
	s_or_b32 exec_lo, exec_lo, s1
	s_delay_alu instid0(SALU_CYCLE_1)
	s_and_b32 exec_lo, exec_lo, s0
	s_cbranch_execz .LBB5_12
; %bb.10:
	s_delay_alu instid0(VALU_DEP_1)
	v_lshlrev_b64 v[2:3], 1, v[0:1]
	s_lshl_b32 s11, s3, 1
	s_mov_b32 s12, 0
.LBB5_11:                               ; =>This Inner Loop Header: Depth=1
	s_delay_alu instid0(VALU_DEP_1) | instskip(NEXT) | instid1(VALU_DEP_2)
	v_add_co_u32 v4, vcc_lo, s7, v2
	v_add_co_ci_u32_e32 v5, vcc_lo, s10, v3, vcc_lo
	global_load_u16 v6, v[4:5], off
	v_add_co_u32 v4, vcc_lo, s2, v2
	v_add_co_ci_u32_e32 v5, vcc_lo, s6, v3, vcc_lo
	global_load_u16 v4, v[4:5], off
	s_waitcnt vmcnt(1)
	v_lshlrev_b32_e32 v5, 16, v6
	s_delay_alu instid0(VALU_DEP_1) | instskip(SKIP_1) | instid1(VALU_DEP_2)
	v_xor_b32_e32 v6, 0x80000000, v5
	v_cmp_o_f32_e32 vcc_lo, v5, v5
	v_bfe_u32 v7, v6, 16, 1
	s_delay_alu instid0(VALU_DEP_1) | instskip(NEXT) | instid1(VALU_DEP_1)
	v_add3_u32 v6, v6, v7, 0x7fff
	v_and_b32_e32 v6, 0xffff0000, v6
	s_delay_alu instid0(VALU_DEP_1) | instskip(NEXT) | instid1(VALU_DEP_1)
	v_cndmask_b32_e32 v6, 0x7fc00000, v6, vcc_lo
	v_mul_f32_e32 v7, 0x3fb8aa3b, v6
	s_delay_alu instid0(VALU_DEP_1) | instskip(SKIP_1) | instid1(VALU_DEP_1)
	v_fma_f32 v8, 0x3fb8aa3b, v6, -v7
	v_rndne_f32_e32 v9, v7
	v_dual_fmac_f32 v8, 0x32a5705f, v6 :: v_dual_sub_f32 v7, v7, v9
	s_delay_alu instid0(VALU_DEP_1) | instskip(SKIP_2) | instid1(VALU_DEP_3)
	v_add_f32_e32 v7, v7, v8
	v_cvt_i32_f32_e32 v8, v9
	v_cmp_ngt_f32_e32 vcc_lo, 0xc2ce8ed0, v6
	v_exp_f32_e32 v7, v7
	s_waitcnt_depctr 0xfff
	v_ldexp_f32 v7, v7, v8
	s_delay_alu instid0(VALU_DEP_1) | instskip(SKIP_1) | instid1(VALU_DEP_2)
	v_cndmask_b32_e32 v7, 0, v7, vcc_lo
	v_cmp_nlt_f32_e32 vcc_lo, 0x42b17218, v6
	v_cndmask_b32_e32 v6, 0x7f800000, v7, vcc_lo
	s_delay_alu instid0(VALU_DEP_1) | instskip(NEXT) | instid1(VALU_DEP_1)
	v_add_f32_e32 v6, 1.0, v6
	v_div_scale_f32 v7, null, v6, v6, v5
	v_div_scale_f32 v10, vcc_lo, v5, v6, v5
	s_delay_alu instid0(VALU_DEP_2) | instskip(SKIP_2) | instid1(VALU_DEP_1)
	v_rcp_f32_e32 v8, v7
	s_waitcnt_depctr 0xfff
	v_fma_f32 v9, -v7, v8, 1.0
	v_fmac_f32_e32 v8, v9, v8
	s_delay_alu instid0(VALU_DEP_1) | instskip(NEXT) | instid1(VALU_DEP_1)
	v_mul_f32_e32 v9, v10, v8
	v_fma_f32 v11, -v7, v9, v10
	s_delay_alu instid0(VALU_DEP_1) | instskip(NEXT) | instid1(VALU_DEP_1)
	v_fmac_f32_e32 v9, v11, v8
	v_fma_f32 v7, -v7, v9, v10
	s_delay_alu instid0(VALU_DEP_1) | instskip(NEXT) | instid1(VALU_DEP_1)
	v_div_fmas_f32 v7, v7, v8, v9
	v_div_fixup_f32 v5, v7, v6, v5
	s_delay_alu instid0(VALU_DEP_1) | instskip(SKIP_1) | instid1(VALU_DEP_2)
	v_bfe_u32 v6, v5, 16, 1
	v_cmp_o_f32_e32 vcc_lo, v5, v5
	v_add3_u32 v6, v5, v6, 0x7fff
	s_delay_alu instid0(VALU_DEP_1) | instskip(SKIP_1) | instid1(VALU_DEP_1)
	v_and_b32_e32 v6, 0xffff0000, v6
	s_waitcnt vmcnt(0)
	v_dual_cndmask_b32 v5, 0x7fc00000, v6 :: v_dual_lshlrev_b32 v4, 16, v4
	v_add_co_u32 v0, vcc_lo, v0, s3
	v_add_co_ci_u32_e32 v1, vcc_lo, 0, v1, vcc_lo
	s_delay_alu instid0(VALU_DEP_3) | instskip(NEXT) | instid1(VALU_DEP_2)
	v_mul_f32_e32 v6, v5, v4
	v_cmp_le_i64_e64 s0, s[8:9], v[0:1]
	s_delay_alu instid0(VALU_DEP_2) | instskip(SKIP_1) | instid1(VALU_DEP_3)
	v_bfe_u32 v4, v6, 16, 1
	v_cmp_o_f32_e64 s1, v6, v6
	s_or_b32 s12, s0, s12
	s_delay_alu instid0(VALU_DEP_2) | instskip(SKIP_2) | instid1(VALU_DEP_3)
	v_add3_u32 v7, v6, v4, 0x7fff
	v_add_co_u32 v4, vcc_lo, s4, v2
	v_add_co_ci_u32_e32 v5, vcc_lo, s5, v3, vcc_lo
	v_lshrrev_b32_e32 v7, 16, v7
	v_add_co_u32 v2, vcc_lo, v2, s11
	v_add_co_ci_u32_e32 v3, vcc_lo, 0, v3, vcc_lo
	s_delay_alu instid0(VALU_DEP_3)
	v_cndmask_b32_e64 v6, 0x7fc0, v7, s1
	global_store_b16 v[4:5], v6, off
	s_and_not1_b32 exec_lo, exec_lo, s12
	s_cbranch_execnz .LBB5_11
.LBB5_12:
	s_nop 0
	s_sendmsg sendmsg(MSG_DEALLOC_VGPRS)
	s_endpgm
	.section	.rodata,"a",@progbits
	.p2align	6, 0x0
	.amdhsa_kernel _ZN4vllm18act_and_mul_kernelIN3c108BFloat16ETnPFT_RKS3_EXadL_ZNS_11silu_kernelIS2_EES3_S5_EELb0EEEvPS3_PS4_i
		.amdhsa_group_segment_fixed_size 0
		.amdhsa_private_segment_fixed_size 0
		.amdhsa_kernarg_size 280
		.amdhsa_user_sgpr_count 15
		.amdhsa_user_sgpr_dispatch_ptr 0
		.amdhsa_user_sgpr_queue_ptr 0
		.amdhsa_user_sgpr_kernarg_segment_ptr 1
		.amdhsa_user_sgpr_dispatch_id 0
		.amdhsa_user_sgpr_private_segment_size 0
		.amdhsa_wavefront_size32 1
		.amdhsa_uses_dynamic_stack 0
		.amdhsa_enable_private_segment 0
		.amdhsa_system_sgpr_workgroup_id_x 1
		.amdhsa_system_sgpr_workgroup_id_y 0
		.amdhsa_system_sgpr_workgroup_id_z 0
		.amdhsa_system_sgpr_workgroup_info 0
		.amdhsa_system_vgpr_workitem_id 0
		.amdhsa_next_free_vgpr 25
		.amdhsa_next_free_sgpr 16
		.amdhsa_reserve_vcc 1
		.amdhsa_float_round_mode_32 0
		.amdhsa_float_round_mode_16_64 0
		.amdhsa_float_denorm_mode_32 3
		.amdhsa_float_denorm_mode_16_64 3
		.amdhsa_dx10_clamp 1
		.amdhsa_ieee_mode 1
		.amdhsa_fp16_overflow 0
		.amdhsa_workgroup_processor_mode 1
		.amdhsa_memory_ordered 1
		.amdhsa_forward_progress 0
		.amdhsa_shared_vgpr_count 0
		.amdhsa_exception_fp_ieee_invalid_op 0
		.amdhsa_exception_fp_denorm_src 0
		.amdhsa_exception_fp_ieee_div_zero 0
		.amdhsa_exception_fp_ieee_overflow 0
		.amdhsa_exception_fp_ieee_underflow 0
		.amdhsa_exception_fp_ieee_inexact 0
		.amdhsa_exception_int_div_zero 0
	.end_amdhsa_kernel
	.section	.text._ZN4vllm18act_and_mul_kernelIN3c108BFloat16ETnPFT_RKS3_EXadL_ZNS_11silu_kernelIS2_EES3_S5_EELb0EEEvPS3_PS4_i,"axG",@progbits,_ZN4vllm18act_and_mul_kernelIN3c108BFloat16ETnPFT_RKS3_EXadL_ZNS_11silu_kernelIS2_EES3_S5_EELb0EEEvPS3_PS4_i,comdat
.Lfunc_end5:
	.size	_ZN4vllm18act_and_mul_kernelIN3c108BFloat16ETnPFT_RKS3_EXadL_ZNS_11silu_kernelIS2_EES3_S5_EELb0EEEvPS3_PS4_i, .Lfunc_end5-_ZN4vllm18act_and_mul_kernelIN3c108BFloat16ETnPFT_RKS3_EXadL_ZNS_11silu_kernelIS2_EES3_S5_EELb0EEEvPS3_PS4_i
                                        ; -- End function
	.section	.AMDGPU.csdata,"",@progbits
; Kernel info:
; codeLenInByte = 2644
; NumSgprs: 18
; NumVgprs: 25
; ScratchSize: 0
; MemoryBound: 0
; FloatMode: 240
; IeeeMode: 1
; LDSByteSize: 0 bytes/workgroup (compile time only)
; SGPRBlocks: 2
; VGPRBlocks: 3
; NumSGPRsForWavesPerEU: 18
; NumVGPRsForWavesPerEU: 25
; Occupancy: 16
; WaveLimiterHint : 0
; COMPUTE_PGM_RSRC2:SCRATCH_EN: 0
; COMPUTE_PGM_RSRC2:USER_SGPR: 15
; COMPUTE_PGM_RSRC2:TRAP_HANDLER: 0
; COMPUTE_PGM_RSRC2:TGID_X_EN: 1
; COMPUTE_PGM_RSRC2:TGID_Y_EN: 0
; COMPUTE_PGM_RSRC2:TGID_Z_EN: 0
; COMPUTE_PGM_RSRC2:TIDIG_COMP_CNT: 0
	.section	.text._ZN4vllm18act_and_mul_kernelIfTnPFT_RKS1_EXadL_ZNS_11gelu_kernelIfEES1_S3_EELb1EEEvPS1_PS2_i,"axG",@progbits,_ZN4vllm18act_and_mul_kernelIfTnPFT_RKS1_EXadL_ZNS_11gelu_kernelIfEES1_S3_EELb1EEEvPS1_PS2_i,comdat
	.protected	_ZN4vllm18act_and_mul_kernelIfTnPFT_RKS1_EXadL_ZNS_11gelu_kernelIfEES1_S3_EELb1EEEvPS1_PS2_i ; -- Begin function _ZN4vllm18act_and_mul_kernelIfTnPFT_RKS1_EXadL_ZNS_11gelu_kernelIfEES1_S3_EELb1EEEvPS1_PS2_i
	.globl	_ZN4vllm18act_and_mul_kernelIfTnPFT_RKS1_EXadL_ZNS_11gelu_kernelIfEES1_S3_EELb1EEEvPS1_PS2_i
	.p2align	8
	.type	_ZN4vllm18act_and_mul_kernelIfTnPFT_RKS1_EXadL_ZNS_11gelu_kernelIfEES1_S3_EELb1EEEvPS1_PS2_i,@function
_ZN4vllm18act_and_mul_kernelIfTnPFT_RKS1_EXadL_ZNS_11gelu_kernelIfEES1_S3_EELb1EEEvPS1_PS2_i: ; @_ZN4vllm18act_and_mul_kernelIfTnPFT_RKS1_EXadL_ZNS_11gelu_kernelIfEES1_S3_EELb1EEEvPS1_PS2_i
; %bb.0:
	s_load_b32 s2, s[0:1], 0x10
	s_mov_b32 s3, exec_lo
	s_waitcnt lgkmcnt(0)
	v_cmpx_gt_i32_e64 s2, v0
	s_cbranch_execz .LBB6_7
; %bb.1:
	s_clause 0x1
	s_load_b128 s[8:11], s[0:1], 0x0
	s_load_b32 s0, s[0:1], 0x24
	s_ashr_i32 s3, s2, 31
	s_mul_hi_u32 s1, s15, s2
	s_mul_i32 s4, s15, s3
	s_mul_i32 s12, s15, s2
	s_add_i32 s13, s1, s4
	v_dual_mov_b32 v1, 0 :: v_dual_lshlrev_b32 v2, 2, v0
	s_lshl_b64 s[4:5], s[12:13], 3
	s_mov_b32 s1, 0
	s_delay_alu instid0(VALU_DEP_1) | instskip(SKIP_4) | instid1(SALU_CYCLE_1)
	v_mov_b32_e32 v3, v1
	s_waitcnt lgkmcnt(0)
	s_add_u32 s4, s10, s4
	s_addc_u32 s5, s11, s5
	s_lshl_b64 s[6:7], s[2:3], 2
	s_add_u32 s6, s4, s6
	s_addc_u32 s7, s5, s7
	s_lshl_b64 s[10:11], s[12:13], 2
	s_mov_b32 s13, 0xba1345e1
	s_add_u32 s8, s8, s10
	s_addc_u32 s9, s9, s11
	s_and_b32 s10, s0, 0xffff
	s_mov_b32 s11, 0x378e98ab
	s_lshl_b32 s12, s10, 2
	s_branch .LBB6_3
.LBB6_2:                                ;   in Loop: Header=BB6_3 Depth=1
	s_or_b32 exec_lo, exec_lo, s0
	s_delay_alu instid0(VALU_DEP_1) | instskip(SKIP_3) | instid1(VALU_DEP_4)
	v_bfi_b32 v6, 0x7fffffff, v7, v6
	v_mul_f32_e32 v5, 0.5, v5
	v_add_co_u32 v0, vcc_lo, v0, s10
	v_add_co_ci_u32_e32 v1, vcc_lo, 0, v1, vcc_lo
	v_add_f32_e32 v6, 1.0, v6
	s_delay_alu instid0(VALU_DEP_1)
	v_mul_f32_e32 v7, v5, v6
	v_add_co_u32 v5, vcc_lo, s8, v2
	v_add_co_ci_u32_e32 v6, vcc_lo, s9, v3, vcc_lo
	v_cmp_le_i64_e32 vcc_lo, s[2:3], v[0:1]
	v_add_co_u32 v2, s0, v2, s12
	s_waitcnt vmcnt(0)
	v_mul_f32_e32 v4, v4, v7
	v_add_co_ci_u32_e64 v3, s0, 0, v3, s0
	s_or_b32 s1, vcc_lo, s1
	global_store_b32 v[5:6], v4, off
	s_and_not1_b32 exec_lo, exec_lo, s1
	s_cbranch_execz .LBB6_7
.LBB6_3:                                ; =>This Inner Loop Header: Depth=1
	v_add_co_u32 v4, vcc_lo, s4, v2
	v_add_co_ci_u32_e32 v5, vcc_lo, s5, v3, vcc_lo
	v_add_co_u32 v6, vcc_lo, s6, v2
	v_add_co_ci_u32_e32 v7, vcc_lo, s7, v3, vcc_lo
	s_clause 0x1
	global_load_b32 v5, v[4:5], off
	global_load_b32 v4, v[6:7], off
                                        ; implicit-def: $vgpr7
	s_waitcnt vmcnt(1)
	v_mul_f32_e32 v6, 0x3f3504f3, v5
	s_delay_alu instid0(VALU_DEP_1) | instskip(NEXT) | instid1(VALU_DEP_1)
	v_cmp_nlt_f32_e64 s0, |v6|, 1.0
	s_and_saveexec_b32 s14, s0
	s_delay_alu instid0(SALU_CYCLE_1)
	s_xor_b32 s0, exec_lo, s14
	s_cbranch_execz .LBB6_5
; %bb.4:                                ;   in Loop: Header=BB6_3 Depth=1
	v_fma_f32 v7, |v6|, s11, 0xb9c68948
	s_delay_alu instid0(VALU_DEP_1) | instskip(NEXT) | instid1(VALU_DEP_1)
	v_fma_f32 v7, |v6|, v7, 0x3b7cd369
	v_fma_f32 v7, |v6|, v7, 0xbcc618b2
	s_delay_alu instid0(VALU_DEP_1) | instskip(NEXT) | instid1(VALU_DEP_1)
	v_fma_f32 v7, |v6|, v7, 0x3dda74e4
	;; [unrolled: 3-line block ×3, first 2 shown]
	v_fma_f32 v7, |v6|, v7, |v6|
	s_delay_alu instid0(VALU_DEP_1) | instskip(SKIP_1) | instid1(VALU_DEP_2)
	v_mul_f32_e32 v8, 0xbfb8aa3b, v7
	v_cmp_nlt_f32_e32 vcc_lo, 0x42ce8ed0, v7
	v_fma_f32 v9, 0xbfb8aa3b, v7, -v8
	v_rndne_f32_e32 v10, v8
	s_delay_alu instid0(VALU_DEP_1) | instskip(NEXT) | instid1(VALU_DEP_1)
	v_dual_fmac_f32 v9, 0xb2a5705f, v7 :: v_dual_sub_f32 v8, v8, v10
	v_add_f32_e32 v8, v8, v9
	v_cvt_i32_f32_e32 v9, v10
	s_delay_alu instid0(VALU_DEP_2) | instskip(SKIP_2) | instid1(VALU_DEP_1)
	v_exp_f32_e32 v8, v8
	s_waitcnt_depctr 0xfff
	v_ldexp_f32 v8, v8, v9
	v_cndmask_b32_e32 v8, 0, v8, vcc_lo
	v_cmp_ngt_f32_e32 vcc_lo, 0xc2b17218, v7
	s_delay_alu instid0(VALU_DEP_2) | instskip(NEXT) | instid1(VALU_DEP_1)
	v_cndmask_b32_e32 v7, 0x7f800000, v8, vcc_lo
	v_sub_f32_e32 v7, 1.0, v7
.LBB6_5:                                ;   in Loop: Header=BB6_3 Depth=1
	s_and_not1_saveexec_b32 s0, s0
	s_cbranch_execz .LBB6_2
; %bb.6:                                ;   in Loop: Header=BB6_3 Depth=1
	v_mul_f32_e32 v7, v6, v6
	s_delay_alu instid0(VALU_DEP_1) | instskip(NEXT) | instid1(VALU_DEP_1)
	v_fmaak_f32 v8, s13, v7, 0x3ba10414
	v_fmaak_f32 v8, v7, v8, 0xbcdac9b8
	s_delay_alu instid0(VALU_DEP_1) | instskip(NEXT) | instid1(VALU_DEP_1)
	v_fmaak_f32 v8, v7, v8, 0x3de703be
	v_fmaak_f32 v8, v7, v8, 0xbec09330
	s_delay_alu instid0(VALU_DEP_1) | instskip(NEXT) | instid1(VALU_DEP_1)
	v_fmaak_f32 v7, v7, v8, 0x3e0375d0
	v_fma_f32 v7, |v6|, v7, |v6|
	s_branch .LBB6_2
.LBB6_7:
	s_nop 0
	s_sendmsg sendmsg(MSG_DEALLOC_VGPRS)
	s_endpgm
	.section	.rodata,"a",@progbits
	.p2align	6, 0x0
	.amdhsa_kernel _ZN4vllm18act_and_mul_kernelIfTnPFT_RKS1_EXadL_ZNS_11gelu_kernelIfEES1_S3_EELb1EEEvPS1_PS2_i
		.amdhsa_group_segment_fixed_size 0
		.amdhsa_private_segment_fixed_size 0
		.amdhsa_kernarg_size 280
		.amdhsa_user_sgpr_count 15
		.amdhsa_user_sgpr_dispatch_ptr 0
		.amdhsa_user_sgpr_queue_ptr 0
		.amdhsa_user_sgpr_kernarg_segment_ptr 1
		.amdhsa_user_sgpr_dispatch_id 0
		.amdhsa_user_sgpr_private_segment_size 0
		.amdhsa_wavefront_size32 1
		.amdhsa_uses_dynamic_stack 0
		.amdhsa_enable_private_segment 0
		.amdhsa_system_sgpr_workgroup_id_x 1
		.amdhsa_system_sgpr_workgroup_id_y 0
		.amdhsa_system_sgpr_workgroup_id_z 0
		.amdhsa_system_sgpr_workgroup_info 0
		.amdhsa_system_vgpr_workitem_id 0
		.amdhsa_next_free_vgpr 11
		.amdhsa_next_free_sgpr 16
		.amdhsa_reserve_vcc 1
		.amdhsa_float_round_mode_32 0
		.amdhsa_float_round_mode_16_64 0
		.amdhsa_float_denorm_mode_32 3
		.amdhsa_float_denorm_mode_16_64 3
		.amdhsa_dx10_clamp 1
		.amdhsa_ieee_mode 1
		.amdhsa_fp16_overflow 0
		.amdhsa_workgroup_processor_mode 1
		.amdhsa_memory_ordered 1
		.amdhsa_forward_progress 0
		.amdhsa_shared_vgpr_count 0
		.amdhsa_exception_fp_ieee_invalid_op 0
		.amdhsa_exception_fp_denorm_src 0
		.amdhsa_exception_fp_ieee_div_zero 0
		.amdhsa_exception_fp_ieee_overflow 0
		.amdhsa_exception_fp_ieee_underflow 0
		.amdhsa_exception_fp_ieee_inexact 0
		.amdhsa_exception_int_div_zero 0
	.end_amdhsa_kernel
	.section	.text._ZN4vllm18act_and_mul_kernelIfTnPFT_RKS1_EXadL_ZNS_11gelu_kernelIfEES1_S3_EELb1EEEvPS1_PS2_i,"axG",@progbits,_ZN4vllm18act_and_mul_kernelIfTnPFT_RKS1_EXadL_ZNS_11gelu_kernelIfEES1_S3_EELb1EEEvPS1_PS2_i,comdat
.Lfunc_end6:
	.size	_ZN4vllm18act_and_mul_kernelIfTnPFT_RKS1_EXadL_ZNS_11gelu_kernelIfEES1_S3_EELb1EEEvPS1_PS2_i, .Lfunc_end6-_ZN4vllm18act_and_mul_kernelIfTnPFT_RKS1_EXadL_ZNS_11gelu_kernelIfEES1_S3_EELb1EEEvPS1_PS2_i
                                        ; -- End function
	.section	.AMDGPU.csdata,"",@progbits
; Kernel info:
; codeLenInByte = 640
; NumSgprs: 18
; NumVgprs: 11
; ScratchSize: 0
; MemoryBound: 0
; FloatMode: 240
; IeeeMode: 1
; LDSByteSize: 0 bytes/workgroup (compile time only)
; SGPRBlocks: 2
; VGPRBlocks: 1
; NumSGPRsForWavesPerEU: 18
; NumVGPRsForWavesPerEU: 11
; Occupancy: 16
; WaveLimiterHint : 0
; COMPUTE_PGM_RSRC2:SCRATCH_EN: 0
; COMPUTE_PGM_RSRC2:USER_SGPR: 15
; COMPUTE_PGM_RSRC2:TRAP_HANDLER: 0
; COMPUTE_PGM_RSRC2:TGID_X_EN: 1
; COMPUTE_PGM_RSRC2:TGID_Y_EN: 0
; COMPUTE_PGM_RSRC2:TGID_Z_EN: 0
; COMPUTE_PGM_RSRC2:TIDIG_COMP_CNT: 0
	.section	.text._ZN4vllm18act_and_mul_kernelIN3c104HalfETnPFT_RKS3_EXadL_ZNS_11gelu_kernelIS2_EES3_S5_EELb1EEEvPS3_PS4_i,"axG",@progbits,_ZN4vllm18act_and_mul_kernelIN3c104HalfETnPFT_RKS3_EXadL_ZNS_11gelu_kernelIS2_EES3_S5_EELb1EEEvPS3_PS4_i,comdat
	.protected	_ZN4vllm18act_and_mul_kernelIN3c104HalfETnPFT_RKS3_EXadL_ZNS_11gelu_kernelIS2_EES3_S5_EELb1EEEvPS3_PS4_i ; -- Begin function _ZN4vllm18act_and_mul_kernelIN3c104HalfETnPFT_RKS3_EXadL_ZNS_11gelu_kernelIS2_EES3_S5_EELb1EEEvPS3_PS4_i
	.globl	_ZN4vllm18act_and_mul_kernelIN3c104HalfETnPFT_RKS3_EXadL_ZNS_11gelu_kernelIS2_EES3_S5_EELb1EEEvPS3_PS4_i
	.p2align	8
	.type	_ZN4vllm18act_and_mul_kernelIN3c104HalfETnPFT_RKS3_EXadL_ZNS_11gelu_kernelIS2_EES3_S5_EELb1EEEvPS3_PS4_i,@function
_ZN4vllm18act_and_mul_kernelIN3c104HalfETnPFT_RKS3_EXadL_ZNS_11gelu_kernelIS2_EES3_S5_EELb1EEEvPS3_PS4_i: ; @_ZN4vllm18act_and_mul_kernelIN3c104HalfETnPFT_RKS3_EXadL_ZNS_11gelu_kernelIS2_EES3_S5_EELb1EEEvPS3_PS4_i
; %bb.0:
	s_load_b32 s2, s[0:1], 0x10
	s_mov_b32 s3, exec_lo
	s_waitcnt lgkmcnt(0)
	v_cmpx_gt_i32_e64 s2, v0
	s_cbranch_execz .LBB7_7
; %bb.1:
	s_clause 0x1
	s_load_b128 s[8:11], s[0:1], 0x0
	s_load_b32 s0, s[0:1], 0x24
	s_ashr_i32 s3, s2, 31
	s_mul_hi_u32 s1, s15, s2
	s_mul_i32 s4, s15, s3
	s_mul_i32 s12, s15, s2
	s_add_i32 s13, s1, s4
	v_dual_mov_b32 v1, 0 :: v_dual_lshlrev_b32 v2, 1, v0
	s_lshl_b64 s[4:5], s[12:13], 2
	s_mov_b32 s1, 0
	s_delay_alu instid0(VALU_DEP_1) | instskip(SKIP_4) | instid1(SALU_CYCLE_1)
	v_mov_b32_e32 v3, v1
	s_waitcnt lgkmcnt(0)
	s_add_u32 s4, s10, s4
	s_addc_u32 s5, s11, s5
	s_lshl_b64 s[6:7], s[2:3], 1
	s_add_u32 s6, s4, s6
	s_addc_u32 s7, s5, s7
	s_lshl_b64 s[10:11], s[12:13], 1
	s_mov_b32 s13, 0xba1345e1
	s_add_u32 s8, s8, s10
	s_addc_u32 s9, s9, s11
	s_and_b32 s10, s0, 0xffff
	s_mov_b32 s11, 0x378e98ab
	s_lshl_b32 s12, s10, 1
	s_branch .LBB7_3
.LBB7_2:                                ;   in Loop: Header=BB7_3 Depth=1
	s_or_b32 exec_lo, exec_lo, s0
	s_delay_alu instid0(VALU_DEP_1) | instskip(SKIP_3) | instid1(VALU_DEP_4)
	v_bfi_b32 v6, 0x7fffffff, v7, v6
	v_mul_f32_e32 v5, 0.5, v5
	v_add_co_u32 v0, vcc_lo, v0, s10
	v_add_co_ci_u32_e32 v1, vcc_lo, 0, v1, vcc_lo
	v_add_f32_e32 v6, 1.0, v6
	s_delay_alu instid0(VALU_DEP_1)
	v_fma_mixlo_f16 v7, v5, v6, 0
	v_add_co_u32 v5, vcc_lo, s8, v2
	v_add_co_ci_u32_e32 v6, vcc_lo, s9, v3, vcc_lo
	v_cmp_le_i64_e32 vcc_lo, s[2:3], v[0:1]
	v_add_co_u32 v2, s0, v2, s12
	s_waitcnt vmcnt(0)
	v_mul_f16_e32 v4, v4, v7
	v_add_co_ci_u32_e64 v3, s0, 0, v3, s0
	s_or_b32 s1, vcc_lo, s1
	global_store_b16 v[5:6], v4, off
	s_and_not1_b32 exec_lo, exec_lo, s1
	s_cbranch_execz .LBB7_7
.LBB7_3:                                ; =>This Inner Loop Header: Depth=1
	v_add_co_u32 v4, vcc_lo, s4, v2
	v_add_co_ci_u32_e32 v5, vcc_lo, s5, v3, vcc_lo
                                        ; implicit-def: $vgpr7
	global_load_u16 v6, v[4:5], off
	v_add_co_u32 v4, vcc_lo, s6, v2
	v_add_co_ci_u32_e32 v5, vcc_lo, s7, v3, vcc_lo
	global_load_u16 v4, v[4:5], off
	s_waitcnt vmcnt(1)
	v_cvt_f32_f16_e32 v5, v6
	s_delay_alu instid0(VALU_DEP_1) | instskip(NEXT) | instid1(VALU_DEP_1)
	v_mul_f32_e32 v6, 0x3f3504f3, v5
	v_cmp_nlt_f32_e64 s0, |v6|, 1.0
	s_delay_alu instid0(VALU_DEP_1) | instskip(NEXT) | instid1(SALU_CYCLE_1)
	s_and_saveexec_b32 s14, s0
	s_xor_b32 s0, exec_lo, s14
	s_cbranch_execz .LBB7_5
; %bb.4:                                ;   in Loop: Header=BB7_3 Depth=1
	v_fma_f32 v7, |v6|, s11, 0xb9c68948
	s_delay_alu instid0(VALU_DEP_1) | instskip(NEXT) | instid1(VALU_DEP_1)
	v_fma_f32 v7, |v6|, v7, 0x3b7cd369
	v_fma_f32 v7, |v6|, v7, 0xbcc618b2
	s_delay_alu instid0(VALU_DEP_1) | instskip(NEXT) | instid1(VALU_DEP_1)
	v_fma_f32 v7, |v6|, v7, 0x3dda74e4
	v_fma_f32 v7, |v6|, v7, 0x3f228afd
	s_delay_alu instid0(VALU_DEP_1) | instskip(NEXT) | instid1(VALU_DEP_1)
	v_fma_f32 v7, |v6|, v7, 0x3e03c728
	v_fma_f32 v7, |v6|, v7, |v6|
	s_delay_alu instid0(VALU_DEP_1) | instskip(SKIP_1) | instid1(VALU_DEP_2)
	v_mul_f32_e32 v8, 0xbfb8aa3b, v7
	v_cmp_nlt_f32_e32 vcc_lo, 0x42ce8ed0, v7
	v_fma_f32 v9, 0xbfb8aa3b, v7, -v8
	v_rndne_f32_e32 v10, v8
	s_delay_alu instid0(VALU_DEP_1) | instskip(NEXT) | instid1(VALU_DEP_1)
	v_dual_fmac_f32 v9, 0xb2a5705f, v7 :: v_dual_sub_f32 v8, v8, v10
	v_add_f32_e32 v8, v8, v9
	v_cvt_i32_f32_e32 v9, v10
	s_delay_alu instid0(VALU_DEP_2) | instskip(SKIP_2) | instid1(VALU_DEP_1)
	v_exp_f32_e32 v8, v8
	s_waitcnt_depctr 0xfff
	v_ldexp_f32 v8, v8, v9
	v_cndmask_b32_e32 v8, 0, v8, vcc_lo
	v_cmp_ngt_f32_e32 vcc_lo, 0xc2b17218, v7
	s_delay_alu instid0(VALU_DEP_2) | instskip(NEXT) | instid1(VALU_DEP_1)
	v_cndmask_b32_e32 v7, 0x7f800000, v8, vcc_lo
	v_sub_f32_e32 v7, 1.0, v7
.LBB7_5:                                ;   in Loop: Header=BB7_3 Depth=1
	s_and_not1_saveexec_b32 s0, s0
	s_cbranch_execz .LBB7_2
; %bb.6:                                ;   in Loop: Header=BB7_3 Depth=1
	v_mul_f32_e32 v7, v6, v6
	s_delay_alu instid0(VALU_DEP_1) | instskip(NEXT) | instid1(VALU_DEP_1)
	v_fmaak_f32 v8, s13, v7, 0x3ba10414
	v_fmaak_f32 v8, v7, v8, 0xbcdac9b8
	s_delay_alu instid0(VALU_DEP_1) | instskip(NEXT) | instid1(VALU_DEP_1)
	v_fmaak_f32 v8, v7, v8, 0x3de703be
	v_fmaak_f32 v8, v7, v8, 0xbec09330
	s_delay_alu instid0(VALU_DEP_1) | instskip(NEXT) | instid1(VALU_DEP_1)
	v_fmaak_f32 v7, v7, v8, 0x3e0375d0
	v_fma_f32 v7, |v6|, v7, |v6|
	s_branch .LBB7_2
.LBB7_7:
	s_nop 0
	s_sendmsg sendmsg(MSG_DEALLOC_VGPRS)
	s_endpgm
	.section	.rodata,"a",@progbits
	.p2align	6, 0x0
	.amdhsa_kernel _ZN4vllm18act_and_mul_kernelIN3c104HalfETnPFT_RKS3_EXadL_ZNS_11gelu_kernelIS2_EES3_S5_EELb1EEEvPS3_PS4_i
		.amdhsa_group_segment_fixed_size 0
		.amdhsa_private_segment_fixed_size 0
		.amdhsa_kernarg_size 280
		.amdhsa_user_sgpr_count 15
		.amdhsa_user_sgpr_dispatch_ptr 0
		.amdhsa_user_sgpr_queue_ptr 0
		.amdhsa_user_sgpr_kernarg_segment_ptr 1
		.amdhsa_user_sgpr_dispatch_id 0
		.amdhsa_user_sgpr_private_segment_size 0
		.amdhsa_wavefront_size32 1
		.amdhsa_uses_dynamic_stack 0
		.amdhsa_enable_private_segment 0
		.amdhsa_system_sgpr_workgroup_id_x 1
		.amdhsa_system_sgpr_workgroup_id_y 0
		.amdhsa_system_sgpr_workgroup_id_z 0
		.amdhsa_system_sgpr_workgroup_info 0
		.amdhsa_system_vgpr_workitem_id 0
		.amdhsa_next_free_vgpr 11
		.amdhsa_next_free_sgpr 16
		.amdhsa_reserve_vcc 1
		.amdhsa_float_round_mode_32 0
		.amdhsa_float_round_mode_16_64 0
		.amdhsa_float_denorm_mode_32 3
		.amdhsa_float_denorm_mode_16_64 3
		.amdhsa_dx10_clamp 1
		.amdhsa_ieee_mode 1
		.amdhsa_fp16_overflow 0
		.amdhsa_workgroup_processor_mode 1
		.amdhsa_memory_ordered 1
		.amdhsa_forward_progress 0
		.amdhsa_shared_vgpr_count 0
		.amdhsa_exception_fp_ieee_invalid_op 0
		.amdhsa_exception_fp_denorm_src 0
		.amdhsa_exception_fp_ieee_div_zero 0
		.amdhsa_exception_fp_ieee_overflow 0
		.amdhsa_exception_fp_ieee_underflow 0
		.amdhsa_exception_fp_ieee_inexact 0
		.amdhsa_exception_int_div_zero 0
	.end_amdhsa_kernel
	.section	.text._ZN4vllm18act_and_mul_kernelIN3c104HalfETnPFT_RKS3_EXadL_ZNS_11gelu_kernelIS2_EES3_S5_EELb1EEEvPS3_PS4_i,"axG",@progbits,_ZN4vllm18act_and_mul_kernelIN3c104HalfETnPFT_RKS3_EXadL_ZNS_11gelu_kernelIS2_EES3_S5_EELb1EEEvPS3_PS4_i,comdat
.Lfunc_end7:
	.size	_ZN4vllm18act_and_mul_kernelIN3c104HalfETnPFT_RKS3_EXadL_ZNS_11gelu_kernelIS2_EES3_S5_EELb1EEEvPS3_PS4_i, .Lfunc_end7-_ZN4vllm18act_and_mul_kernelIN3c104HalfETnPFT_RKS3_EXadL_ZNS_11gelu_kernelIS2_EES3_S5_EELb1EEEvPS3_PS4_i
                                        ; -- End function
	.section	.AMDGPU.csdata,"",@progbits
; Kernel info:
; codeLenInByte = 644
; NumSgprs: 18
; NumVgprs: 11
; ScratchSize: 0
; MemoryBound: 0
; FloatMode: 240
; IeeeMode: 1
; LDSByteSize: 0 bytes/workgroup (compile time only)
; SGPRBlocks: 2
; VGPRBlocks: 1
; NumSGPRsForWavesPerEU: 18
; NumVGPRsForWavesPerEU: 11
; Occupancy: 16
; WaveLimiterHint : 0
; COMPUTE_PGM_RSRC2:SCRATCH_EN: 0
; COMPUTE_PGM_RSRC2:USER_SGPR: 15
; COMPUTE_PGM_RSRC2:TRAP_HANDLER: 0
; COMPUTE_PGM_RSRC2:TGID_X_EN: 1
; COMPUTE_PGM_RSRC2:TGID_Y_EN: 0
; COMPUTE_PGM_RSRC2:TGID_Z_EN: 0
; COMPUTE_PGM_RSRC2:TIDIG_COMP_CNT: 0
	.section	.text._ZN4vllm18act_and_mul_kernelIN3c108BFloat16ETnPFT_RKS3_EXadL_ZNS_11gelu_kernelIS2_EES3_S5_EELb1EEEvPS3_PS4_i,"axG",@progbits,_ZN4vllm18act_and_mul_kernelIN3c108BFloat16ETnPFT_RKS3_EXadL_ZNS_11gelu_kernelIS2_EES3_S5_EELb1EEEvPS3_PS4_i,comdat
	.protected	_ZN4vllm18act_and_mul_kernelIN3c108BFloat16ETnPFT_RKS3_EXadL_ZNS_11gelu_kernelIS2_EES3_S5_EELb1EEEvPS3_PS4_i ; -- Begin function _ZN4vllm18act_and_mul_kernelIN3c108BFloat16ETnPFT_RKS3_EXadL_ZNS_11gelu_kernelIS2_EES3_S5_EELb1EEEvPS3_PS4_i
	.globl	_ZN4vllm18act_and_mul_kernelIN3c108BFloat16ETnPFT_RKS3_EXadL_ZNS_11gelu_kernelIS2_EES3_S5_EELb1EEEvPS3_PS4_i
	.p2align	8
	.type	_ZN4vllm18act_and_mul_kernelIN3c108BFloat16ETnPFT_RKS3_EXadL_ZNS_11gelu_kernelIS2_EES3_S5_EELb1EEEvPS3_PS4_i,@function
_ZN4vllm18act_and_mul_kernelIN3c108BFloat16ETnPFT_RKS3_EXadL_ZNS_11gelu_kernelIS2_EES3_S5_EELb1EEEvPS3_PS4_i: ; @_ZN4vllm18act_and_mul_kernelIN3c108BFloat16ETnPFT_RKS3_EXadL_ZNS_11gelu_kernelIS2_EES3_S5_EELb1EEEvPS3_PS4_i
; %bb.0:
	s_load_b32 s8, s[0:1], 0x10
	s_mov_b32 s2, exec_lo
	s_waitcnt lgkmcnt(0)
	v_cmpx_gt_i32_e64 s8, v0
	s_cbranch_execz .LBB8_16
; %bb.1:
	s_clause 0x1
	s_load_b32 s2, s[0:1], 0x24
	s_load_b128 s[4:7], s[0:1], 0x0
	s_ashr_i32 s9, s8, 31
	s_mov_b32 s0, exec_lo
	s_waitcnt lgkmcnt(0)
	s_and_b32 s3, s2, 0xffff
	s_delay_alu instid0(SALU_CYCLE_1) | instskip(NEXT) | instid1(VALU_DEP_1)
	v_add_co_u32 v1, s2, v0, s3
	v_add_co_ci_u32_e64 v2, null, 0, 0, s2
	s_delay_alu instid0(VALU_DEP_1) | instskip(SKIP_1) | instid1(VALU_DEP_2)
	v_cmp_gt_i64_e64 s2, s[8:9], v[1:2]
	v_cmp_lt_i64_e32 vcc_lo, s[8:9], v[1:2]
	v_cndmask_b32_e64 v6, 0, 1, s2
	v_cndmask_b32_e32 v3, s9, v2, vcc_lo
	v_cndmask_b32_e32 v4, s8, v1, vcc_lo
	s_delay_alu instid0(VALU_DEP_3) | instskip(SKIP_2) | instid1(VALU_DEP_3)
	v_add_co_u32 v5, vcc_lo, v1, v6
	v_mov_b32_e32 v1, 0
	v_add_co_ci_u32_e32 v2, vcc_lo, 0, v2, vcc_lo
	v_sub_co_u32 v7, vcc_lo, v4, v5
                                        ; implicit-def: $vgpr4_vgpr5
	s_delay_alu instid0(VALU_DEP_2) | instskip(NEXT) | instid1(VALU_DEP_4)
	v_sub_co_ci_u32_e32 v3, vcc_lo, v3, v2, vcc_lo
	v_mov_b32_e32 v2, v1
	s_delay_alu instid0(VALU_DEP_1)
	v_cmpx_ne_u64_e32 0, v[2:3]
	s_xor_b32 s1, exec_lo, s0
	s_cbranch_execz .LBB8_3
; %bb.2:
	v_cvt_f32_u32_e32 v2, s3
	s_sub_u32 s0, 0, s3
	s_subb_u32 s2, 0, 0
	s_delay_alu instid0(VALU_DEP_1) | instskip(NEXT) | instid1(VALU_DEP_1)
	v_fmamk_f32 v2, 0, 0x4f800000, v2
	v_rcp_f32_e32 v2, v2
	s_waitcnt_depctr 0xfff
	v_mul_f32_e32 v2, 0x5f7ffffc, v2
	s_delay_alu instid0(VALU_DEP_1) | instskip(NEXT) | instid1(VALU_DEP_1)
	v_mul_f32_e32 v4, 0x2f800000, v2
	v_trunc_f32_e32 v4, v4
	s_delay_alu instid0(VALU_DEP_1) | instskip(SKIP_1) | instid1(VALU_DEP_2)
	v_fmamk_f32 v2, v4, 0xcf800000, v2
	v_cvt_u32_f32_e32 v4, v4
	v_cvt_u32_f32_e32 v2, v2
	s_delay_alu instid0(VALU_DEP_2) | instskip(NEXT) | instid1(VALU_DEP_2)
	v_mul_lo_u32 v5, s0, v4
	v_mul_hi_u32 v8, s0, v2
	v_mul_lo_u32 v9, s2, v2
	s_delay_alu instid0(VALU_DEP_2) | instskip(SKIP_1) | instid1(VALU_DEP_2)
	v_add_nc_u32_e32 v5, v8, v5
	v_mul_lo_u32 v8, s0, v2
	v_add_nc_u32_e32 v5, v5, v9
	s_delay_alu instid0(VALU_DEP_2) | instskip(NEXT) | instid1(VALU_DEP_2)
	v_mul_hi_u32 v9, v2, v8
	v_mul_lo_u32 v10, v2, v5
	v_mul_hi_u32 v11, v2, v5
	v_mul_hi_u32 v12, v4, v8
	v_mul_lo_u32 v8, v4, v8
	v_mul_hi_u32 v13, v4, v5
	v_mul_lo_u32 v5, v4, v5
	v_add_co_u32 v9, vcc_lo, v9, v10
	v_add_co_ci_u32_e32 v10, vcc_lo, 0, v11, vcc_lo
	s_delay_alu instid0(VALU_DEP_2) | instskip(NEXT) | instid1(VALU_DEP_2)
	v_add_co_u32 v8, vcc_lo, v9, v8
	v_add_co_ci_u32_e32 v8, vcc_lo, v10, v12, vcc_lo
	v_add_co_ci_u32_e32 v9, vcc_lo, 0, v13, vcc_lo
	s_delay_alu instid0(VALU_DEP_2) | instskip(NEXT) | instid1(VALU_DEP_2)
	v_add_co_u32 v5, vcc_lo, v8, v5
	v_add_co_ci_u32_e32 v8, vcc_lo, 0, v9, vcc_lo
	s_delay_alu instid0(VALU_DEP_2) | instskip(NEXT) | instid1(VALU_DEP_2)
	v_add_co_u32 v2, vcc_lo, v2, v5
	v_add_co_ci_u32_e32 v4, vcc_lo, v4, v8, vcc_lo
	s_delay_alu instid0(VALU_DEP_2) | instskip(SKIP_1) | instid1(VALU_DEP_3)
	v_mul_hi_u32 v5, s0, v2
	v_mul_lo_u32 v9, s2, v2
	v_mul_lo_u32 v8, s0, v4
	s_delay_alu instid0(VALU_DEP_1) | instskip(SKIP_1) | instid1(VALU_DEP_2)
	v_add_nc_u32_e32 v5, v5, v8
	v_mul_lo_u32 v8, s0, v2
	v_add_nc_u32_e32 v5, v5, v9
	s_delay_alu instid0(VALU_DEP_2) | instskip(NEXT) | instid1(VALU_DEP_2)
	v_mul_hi_u32 v9, v2, v8
	v_mul_lo_u32 v10, v2, v5
	v_mul_hi_u32 v11, v2, v5
	v_mul_hi_u32 v12, v4, v8
	v_mul_lo_u32 v8, v4, v8
	v_mul_hi_u32 v13, v4, v5
	v_mul_lo_u32 v5, v4, v5
	v_add_co_u32 v9, vcc_lo, v9, v10
	v_add_co_ci_u32_e32 v10, vcc_lo, 0, v11, vcc_lo
	s_delay_alu instid0(VALU_DEP_2) | instskip(NEXT) | instid1(VALU_DEP_2)
	v_add_co_u32 v8, vcc_lo, v9, v8
	v_add_co_ci_u32_e32 v8, vcc_lo, v10, v12, vcc_lo
	v_add_co_ci_u32_e32 v9, vcc_lo, 0, v13, vcc_lo
	s_delay_alu instid0(VALU_DEP_2) | instskip(NEXT) | instid1(VALU_DEP_2)
	v_add_co_u32 v5, vcc_lo, v8, v5
	v_add_co_ci_u32_e32 v8, vcc_lo, 0, v9, vcc_lo
	s_delay_alu instid0(VALU_DEP_2) | instskip(NEXT) | instid1(VALU_DEP_2)
	v_add_co_u32 v2, vcc_lo, v2, v5
	v_add_co_ci_u32_e32 v12, vcc_lo, v4, v8, vcc_lo
	s_delay_alu instid0(VALU_DEP_2) | instskip(SKIP_1) | instid1(VALU_DEP_3)
	v_mul_hi_u32 v13, v7, v2
	v_mad_u64_u32 v[8:9], null, v3, v2, 0
	v_mad_u64_u32 v[4:5], null, v7, v12, 0
	v_mad_u64_u32 v[10:11], null, v3, v12, 0
	s_delay_alu instid0(VALU_DEP_2) | instskip(NEXT) | instid1(VALU_DEP_3)
	v_add_co_u32 v2, vcc_lo, v13, v4
	v_add_co_ci_u32_e32 v4, vcc_lo, 0, v5, vcc_lo
	s_delay_alu instid0(VALU_DEP_2) | instskip(NEXT) | instid1(VALU_DEP_2)
	v_add_co_u32 v2, vcc_lo, v2, v8
	v_add_co_ci_u32_e32 v2, vcc_lo, v4, v9, vcc_lo
	v_add_co_ci_u32_e32 v4, vcc_lo, 0, v11, vcc_lo
	s_delay_alu instid0(VALU_DEP_2) | instskip(NEXT) | instid1(VALU_DEP_2)
	v_add_co_u32 v10, vcc_lo, v2, v10
	v_add_co_ci_u32_e32 v11, vcc_lo, 0, v4, vcc_lo
	s_delay_alu instid0(VALU_DEP_2) | instskip(NEXT) | instid1(VALU_DEP_1)
	v_mad_u64_u32 v[4:5], null, s3, v10, 0
	v_mov_b32_e32 v2, v5
	s_delay_alu instid0(VALU_DEP_1) | instskip(NEXT) | instid1(VALU_DEP_3)
	v_mad_u64_u32 v[8:9], null, s3, v11, v[2:3]
	v_sub_co_u32 v2, vcc_lo, v7, v4
	s_delay_alu instid0(VALU_DEP_2) | instskip(NEXT) | instid1(VALU_DEP_2)
	v_sub_co_ci_u32_e32 v3, vcc_lo, v3, v8, vcc_lo
	v_sub_co_u32 v4, vcc_lo, v2, s3
	s_delay_alu instid0(VALU_DEP_2) | instskip(NEXT) | instid1(VALU_DEP_2)
	v_subrev_co_ci_u32_e32 v5, vcc_lo, 0, v3, vcc_lo
	v_cmp_le_u32_e32 vcc_lo, s3, v4
	v_cmp_eq_u32_e64 s0, 0, v3
	v_cndmask_b32_e64 v4, 0, -1, vcc_lo
	v_add_co_u32 v7, vcc_lo, v10, 2
	v_add_co_ci_u32_e32 v8, vcc_lo, 0, v11, vcc_lo
	v_cmp_le_u32_e32 vcc_lo, s3, v2
	v_cndmask_b32_e64 v2, 0, -1, vcc_lo
	v_cmp_eq_u32_e32 vcc_lo, 0, v5
	s_delay_alu instid0(VALU_DEP_2) | instskip(SKIP_3) | instid1(VALU_DEP_3)
	v_cndmask_b32_e64 v2, -1, v2, s0
	v_cndmask_b32_e32 v4, -1, v4, vcc_lo
	v_add_co_u32 v5, vcc_lo, v10, 1
	v_add_co_ci_u32_e32 v9, vcc_lo, 0, v11, vcc_lo
	v_cmp_ne_u32_e32 vcc_lo, 0, v4
	s_delay_alu instid0(VALU_DEP_2) | instskip(NEXT) | instid1(VALU_DEP_4)
	v_cndmask_b32_e32 v3, v9, v8, vcc_lo
	v_cndmask_b32_e32 v4, v5, v7, vcc_lo
	v_cmp_ne_u32_e32 vcc_lo, 0, v2
                                        ; implicit-def: $vgpr7
	s_delay_alu instid0(VALU_DEP_2)
	v_dual_cndmask_b32 v5, v11, v3 :: v_dual_cndmask_b32 v4, v10, v4
.LBB8_3:
	s_and_not1_saveexec_b32 s0, s1
	s_cbranch_execz .LBB8_5
; %bb.4:
	v_cvt_f32_u32_e32 v2, s3
	s_sub_i32 s1, 0, s3
	s_delay_alu instid0(VALU_DEP_1) | instskip(SKIP_2) | instid1(VALU_DEP_1)
	v_rcp_iflag_f32_e32 v2, v2
	s_waitcnt_depctr 0xfff
	v_mul_f32_e32 v2, 0x4f7ffffe, v2
	v_cvt_u32_f32_e32 v2, v2
	s_delay_alu instid0(VALU_DEP_1) | instskip(NEXT) | instid1(VALU_DEP_1)
	v_mul_lo_u32 v3, s1, v2
	v_mul_hi_u32 v3, v2, v3
	s_delay_alu instid0(VALU_DEP_1) | instskip(NEXT) | instid1(VALU_DEP_1)
	v_add_nc_u32_e32 v2, v2, v3
	v_mul_hi_u32 v2, v7, v2
	s_delay_alu instid0(VALU_DEP_1) | instskip(SKIP_1) | instid1(VALU_DEP_2)
	v_mul_lo_u32 v3, v2, s3
	v_add_nc_u32_e32 v4, 1, v2
	v_sub_nc_u32_e32 v3, v7, v3
	s_delay_alu instid0(VALU_DEP_1) | instskip(SKIP_1) | instid1(VALU_DEP_2)
	v_subrev_nc_u32_e32 v5, s3, v3
	v_cmp_le_u32_e32 vcc_lo, s3, v3
	v_cndmask_b32_e32 v3, v3, v5, vcc_lo
	v_dual_mov_b32 v5, 0 :: v_dual_cndmask_b32 v2, v2, v4
	s_delay_alu instid0(VALU_DEP_2) | instskip(NEXT) | instid1(VALU_DEP_2)
	v_cmp_le_u32_e32 vcc_lo, s3, v3
	v_add_nc_u32_e32 v4, 1, v2
	s_delay_alu instid0(VALU_DEP_1)
	v_cndmask_b32_e32 v4, v2, v4, vcc_lo
.LBB8_5:
	s_or_b32 exec_lo, exec_lo, s0
	s_delay_alu instid0(VALU_DEP_1) | instskip(SKIP_3) | instid1(VALU_DEP_2)
	v_add_co_u32 v2, vcc_lo, v4, v6
	v_add_co_ci_u32_e32 v3, vcc_lo, 0, v5, vcc_lo
	s_mul_i32 s0, s15, s9
	s_mul_hi_u32 s1, s15, s8
	v_add_co_u32 v2, vcc_lo, v2, 1
	s_mul_i32 s10, s15, s8
	s_add_i32 s11, s1, s0
	v_add_co_ci_u32_e32 v3, vcc_lo, 0, v3, vcc_lo
	s_lshl_b64 s[12:13], s[10:11], 2
	v_cmp_eq_u16_e64 s0, s3, 1
	s_add_u32 s1, s6, s12
	s_addc_u32 s2, s7, s13
	s_lshl_b64 s[6:7], s[8:9], 1
	v_cmp_lt_u64_e32 vcc_lo, 1, v[2:3]
	s_add_u32 s6, s1, s6
	s_addc_u32 s7, s2, s7
	s_lshl_b64 s[10:11], s[10:11], 1
	s_delay_alu instid0(SALU_CYCLE_1)
	s_add_u32 s4, s4, s10
	s_addc_u32 s5, s5, s11
	s_and_b32 s11, vcc_lo, s0
	s_mov_b32 s0, -1
	s_and_saveexec_b32 s10, s11
	s_cbranch_execz .LBB8_9
; %bb.6:
	v_dual_mov_b32 v5, v3 :: v_dual_and_b32 v4, -2, v2
	v_dual_mov_b32 v9, 0 :: v_dual_lshlrev_b32 v8, 1, v0
	s_mov_b32 s11, 0
	s_lshl_b32 s12, s3, 2
	s_delay_alu instid0(VALU_DEP_2)
	v_dual_mov_b32 v7, v5 :: v_dual_mov_b32 v6, v4
	s_mov_b32 s13, 0x378e98ab
	s_mov_b32 s14, 0xba1345e1
.LBB8_7:                                ; =>This Inner Loop Header: Depth=1
	v_add_co_u32 v10, vcc_lo, s1, v8
	v_add_co_ci_u32_e32 v11, vcc_lo, s2, v9, vcc_lo
	global_load_b32 v12, v[10:11], off
	v_add_co_u32 v10, vcc_lo, s6, v8
	v_add_co_ci_u32_e32 v11, vcc_lo, s7, v9, vcc_lo
	global_load_b32 v10, v[10:11], off
	s_waitcnt vmcnt(1)
	v_lshlrev_b32_e32 v11, 16, v12
	v_and_b32_e32 v12, 0xffff0000, v12
	s_delay_alu instid0(VALU_DEP_1) | instskip(NEXT) | instid1(VALU_DEP_1)
	v_mul_f32_e32 v14, 0x3f3504f3, v12
	v_fma_f32 v16, |v14|, s13, 0xb9c68948
	v_mul_f32_e32 v18, v14, v14
	s_delay_alu instid0(VALU_DEP_2) | instskip(NEXT) | instid1(VALU_DEP_2)
	v_fma_f32 v16, |v14|, v16, 0x3b7cd369
	v_fmaak_f32 v20, s14, v18, 0x3ba10414
	s_delay_alu instid0(VALU_DEP_2) | instskip(NEXT) | instid1(VALU_DEP_2)
	v_fma_f32 v16, |v14|, v16, 0xbcc618b2
	v_fmaak_f32 v20, v18, v20, 0xbcdac9b8
	;; [unrolled: 3-line block ×5, first 2 shown]
	s_delay_alu instid0(VALU_DEP_2) | instskip(NEXT) | instid1(VALU_DEP_1)
	v_fma_f32 v16, |v14|, v16, |v14|
	v_mul_f32_e32 v22, 0xbfb8aa3b, v16
	v_cmp_nlt_f32_e64 s0, 0x42ce8ed0, v16
	s_delay_alu instid0(VALU_DEP_2) | instskip(SKIP_2) | instid1(VALU_DEP_3)
	v_rndne_f32_e32 v25, v22
	v_mul_f32_e32 v13, 0x3f3504f3, v11
	v_fma_f32 v24, 0xbfb8aa3b, v16, -v22
	v_dual_mul_f32 v11, 0.5, v11 :: v_dual_sub_f32 v22, v22, v25
	s_delay_alu instid0(VALU_DEP_3) | instskip(NEXT) | instid1(VALU_DEP_3)
	v_fma_f32 v15, |v13|, s13, 0xb9c68948
	v_dual_fmac_f32 v24, 0xb2a5705f, v16 :: v_dual_mul_f32 v17, v13, v13
	v_mul_f32_e32 v12, 0.5, v12
	s_delay_alu instid0(VALU_DEP_3) | instskip(NEXT) | instid1(VALU_DEP_3)
	v_fma_f32 v15, |v13|, v15, 0x3b7cd369
	v_dual_add_f32 v22, v22, v24 :: v_dual_fmaak_f32 v19, s14, v17, 0x3ba10414
	s_delay_alu instid0(VALU_DEP_2) | instskip(NEXT) | instid1(VALU_DEP_2)
	v_fma_f32 v15, |v13|, v15, 0xbcc618b2
	v_exp_f32_e32 v22, v22
	s_delay_alu instid0(VALU_DEP_2) | instskip(NEXT) | instid1(VALU_DEP_2)
	v_fmaak_f32 v19, v17, v19, 0xbcdac9b8
	v_fma_f32 v15, |v13|, v15, 0x3dda74e4
	s_delay_alu instid0(VALU_DEP_2) | instskip(NEXT) | instid1(VALU_DEP_2)
	v_fmaak_f32 v19, v17, v19, 0x3de703be
	v_fma_f32 v15, |v13|, v15, 0x3f228afd
	;; [unrolled: 3-line block ×3, first 2 shown]
	s_delay_alu instid0(VALU_DEP_2) | instskip(NEXT) | instid1(VALU_DEP_2)
	v_fmaak_f32 v17, v17, v19, 0x3e0375d0
	v_fma_f32 v15, |v13|, v15, |v13|
	s_delay_alu instid0(VALU_DEP_2) | instskip(NEXT) | instid1(VALU_DEP_2)
	v_fma_f32 v17, |v13|, v17, |v13|
	v_mul_f32_e32 v21, 0xbfb8aa3b, v15
	v_cmp_nlt_f32_e32 vcc_lo, 0x42ce8ed0, v15
	s_delay_alu instid0(VALU_DEP_2) | instskip(SKIP_1) | instid1(VALU_DEP_2)
	v_fma_f32 v23, 0xbfb8aa3b, v15, -v21
	v_rndne_f32_e32 v26, v21
	v_fmac_f32_e32 v23, 0xb2a5705f, v15
	s_delay_alu instid0(VALU_DEP_2) | instskip(SKIP_2) | instid1(VALU_DEP_3)
	v_sub_f32_e32 v21, v21, v26
	v_cvt_i32_f32_e32 v24, v26
	v_fma_f32 v18, |v14|, v18, |v14|
	v_add_f32_e32 v21, v21, v23
	v_cvt_i32_f32_e32 v23, v25
	s_delay_alu instid0(VALU_DEP_2) | instskip(NEXT) | instid1(VALU_DEP_1)
	v_exp_f32_e32 v21, v21
	v_ldexp_f32 v19, v22, v23
	s_delay_alu instid0(VALU_DEP_1) | instskip(SKIP_3) | instid1(VALU_DEP_1)
	v_cndmask_b32_e64 v19, 0, v19, s0
	v_cmp_ngt_f32_e64 s0, 0xc2b17218, v16
	s_waitcnt_depctr 0xfff
	v_ldexp_f32 v20, v21, v24
	v_cndmask_b32_e32 v20, 0, v20, vcc_lo
	v_cmp_ngt_f32_e32 vcc_lo, 0xc2b17218, v15
	v_cndmask_b32_e64 v15, 0x7f800000, v19, s0
	v_cmp_nlt_f32_e64 s0, |v14|, 1.0
	s_delay_alu instid0(VALU_DEP_2) | instskip(SKIP_1) | instid1(VALU_DEP_2)
	v_dual_cndmask_b32 v16, 0x7f800000, v20 :: v_dual_sub_f32 v15, 1.0, v15
	v_cmp_nlt_f32_e64 vcc_lo, |v13|, 1.0
	v_sub_f32_e32 v16, 1.0, v16
	s_delay_alu instid0(VALU_DEP_3) | instskip(NEXT) | instid1(VALU_DEP_2)
	v_cndmask_b32_e64 v15, v18, v15, s0
	v_cndmask_b32_e32 v16, v17, v16, vcc_lo
	s_delay_alu instid0(VALU_DEP_2) | instskip(SKIP_2) | instid1(VALU_DEP_3)
	v_bfi_b32 v14, 0x7fffffff, v15, v14
	s_waitcnt vmcnt(0)
	v_and_b32_e32 v15, 0xffff0000, v10
	v_bfi_b32 v13, 0x7fffffff, v16, v13
	s_delay_alu instid0(VALU_DEP_3) | instskip(NEXT) | instid1(VALU_DEP_2)
	v_add_f32_e32 v14, 1.0, v14
	v_dual_add_f32 v13, 1.0, v13 :: v_dual_lshlrev_b32 v16, 16, v10
	s_delay_alu instid0(VALU_DEP_1) | instskip(NEXT) | instid1(VALU_DEP_1)
	v_dual_mul_f32 v12, v12, v14 :: v_dual_mul_f32 v11, v11, v13
	v_bfe_u32 v13, v12, 16, 1
	v_cmp_o_f32_e64 s0, v12, v12
	s_delay_alu instid0(VALU_DEP_3) | instskip(NEXT) | instid1(VALU_DEP_3)
	v_bfe_u32 v14, v11, 16, 1
	v_add3_u32 v13, v12, v13, 0x7fff
	v_cmp_o_f32_e32 vcc_lo, v11, v11
	s_delay_alu instid0(VALU_DEP_3) | instskip(NEXT) | instid1(VALU_DEP_3)
	v_add3_u32 v14, v11, v14, 0x7fff
	v_and_b32_e32 v10, 0xffff0000, v13
	s_delay_alu instid0(VALU_DEP_2) | instskip(NEXT) | instid1(VALU_DEP_2)
	v_and_b32_e32 v13, 0xffff0000, v14
	v_cndmask_b32_e64 v11, 0x7fc00000, v10, s0
	s_delay_alu instid0(VALU_DEP_1) | instskip(SKIP_2) | instid1(VALU_DEP_3)
	v_dual_cndmask_b32 v12, 0x7fc00000, v13 :: v_dual_mul_f32 v13, v11, v15
	v_add_co_u32 v10, vcc_lo, s4, v8
	v_add_co_ci_u32_e32 v11, vcc_lo, s5, v9, vcc_lo
	v_mul_f32_e32 v12, v12, v16
	s_delay_alu instid0(VALU_DEP_4) | instskip(SKIP_2) | instid1(VALU_DEP_4)
	v_bfe_u32 v14, v13, 16, 1
	v_add_co_u32 v6, vcc_lo, v6, -2
	v_add_co_ci_u32_e32 v7, vcc_lo, -1, v7, vcc_lo
	v_bfe_u32 v15, v12, 16, 1
	s_delay_alu instid0(VALU_DEP_4) | instskip(SKIP_2) | instid1(VALU_DEP_4)
	v_add3_u32 v14, v13, v14, 0x7fff
	v_cmp_o_f32_e32 vcc_lo, v12, v12
	v_cmp_o_f32_e64 s0, v13, v13
	v_add3_u32 v15, v12, v15, 0x7fff
	s_delay_alu instid0(VALU_DEP_4) | instskip(NEXT) | instid1(VALU_DEP_2)
	v_lshrrev_b32_e32 v14, 16, v14
	v_lshrrev_b32_e32 v15, 16, v15
	s_delay_alu instid0(VALU_DEP_2) | instskip(SKIP_1) | instid1(VALU_DEP_1)
	v_cndmask_b32_e64 v12, 0x7fc0, v14, s0
	v_add_co_u32 v8, s0, v8, s12
	v_add_co_ci_u32_e64 v9, s0, 0, v9, s0
	s_delay_alu instid0(VALU_DEP_4) | instskip(SKIP_1) | instid1(VALU_DEP_2)
	v_cndmask_b32_e32 v13, 0x7fc0, v15, vcc_lo
	v_cmp_eq_u64_e32 vcc_lo, 0, v[6:7]
	v_perm_b32 v12, v12, v13, 0x5040100
	s_or_b32 s11, vcc_lo, s11
	global_store_b32 v[10:11], v12, off
	s_and_not1_b32 exec_lo, exec_lo, s11
	s_cbranch_execnz .LBB8_7
; %bb.8:
	s_or_b32 exec_lo, exec_lo, s11
	v_mad_u64_u32 v[6:7], null, v4, s3, v[0:1]
	v_cmp_ne_u64_e32 vcc_lo, v[2:3], v[4:5]
	s_or_not1_b32 s0, vcc_lo, exec_lo
	s_delay_alu instid0(VALU_DEP_2) | instskip(NEXT) | instid1(VALU_DEP_1)
	v_mov_b32_e32 v0, v7
	v_mad_u64_u32 v[7:8], null, v5, s3, v[0:1]
	s_delay_alu instid0(VALU_DEP_1)
	v_dual_mov_b32 v0, v6 :: v_dual_mov_b32 v1, v7
.LBB8_9:
	s_or_b32 exec_lo, exec_lo, s10
	s_delay_alu instid0(SALU_CYCLE_1)
	s_and_b32 exec_lo, exec_lo, s0
	s_cbranch_execz .LBB8_16
; %bb.10:
	s_delay_alu instid0(VALU_DEP_1)
	v_lshlrev_b64 v[2:3], 1, v[0:1]
	s_lshl_b32 s10, s3, 1
	s_mov_b32 s11, 0
	s_mov_b32 s12, 0x378e98ab
	;; [unrolled: 1-line block ×3, first 2 shown]
	s_branch .LBB8_12
.LBB8_11:                               ;   in Loop: Header=BB8_12 Depth=1
	s_or_b32 exec_lo, exec_lo, s0
	s_delay_alu instid0(VALU_DEP_1) | instskip(SKIP_2) | instid1(VALU_DEP_2)
	v_bfi_b32 v6, 0x7fffffff, v7, v6
	s_waitcnt vmcnt(0)
	v_dual_mul_f32 v5, 0.5, v5 :: v_dual_lshlrev_b32 v4, 16, v4
	v_add_f32_e32 v6, 1.0, v6
	s_delay_alu instid0(VALU_DEP_1) | instskip(NEXT) | instid1(VALU_DEP_1)
	v_mul_f32_e32 v5, v5, v6
	v_bfe_u32 v6, v5, 16, 1
	v_cmp_o_f32_e32 vcc_lo, v5, v5
	s_delay_alu instid0(VALU_DEP_2) | instskip(NEXT) | instid1(VALU_DEP_1)
	v_add3_u32 v6, v5, v6, 0x7fff
	v_and_b32_e32 v6, 0xffff0000, v6
	s_delay_alu instid0(VALU_DEP_1) | instskip(SKIP_2) | instid1(VALU_DEP_3)
	v_cndmask_b32_e32 v5, 0x7fc00000, v6, vcc_lo
	v_add_co_u32 v0, vcc_lo, v0, s3
	v_add_co_ci_u32_e32 v1, vcc_lo, 0, v1, vcc_lo
	v_mul_f32_e32 v6, v5, v4
	s_delay_alu instid0(VALU_DEP_1) | instskip(SKIP_1) | instid1(VALU_DEP_2)
	v_bfe_u32 v4, v6, 16, 1
	v_cmp_o_f32_e64 s0, v6, v6
	v_add3_u32 v4, v6, v4, 0x7fff
	s_delay_alu instid0(VALU_DEP_1) | instskip(SKIP_3) | instid1(VALU_DEP_4)
	v_lshrrev_b32_e32 v7, 16, v4
	v_add_co_u32 v4, vcc_lo, s4, v2
	v_add_co_ci_u32_e32 v5, vcc_lo, s5, v3, vcc_lo
	v_cmp_le_i64_e32 vcc_lo, s[8:9], v[0:1]
	v_cndmask_b32_e64 v6, 0x7fc0, v7, s0
	v_add_co_u32 v2, s0, v2, s10
	s_delay_alu instid0(VALU_DEP_1)
	v_add_co_ci_u32_e64 v3, s0, 0, v3, s0
	s_or_b32 s11, vcc_lo, s11
	global_store_b16 v[4:5], v6, off
	s_and_not1_b32 exec_lo, exec_lo, s11
	s_cbranch_execz .LBB8_16
.LBB8_12:                               ; =>This Inner Loop Header: Depth=1
	v_add_co_u32 v4, vcc_lo, s1, v2
	v_add_co_ci_u32_e32 v5, vcc_lo, s2, v3, vcc_lo
                                        ; implicit-def: $vgpr7
	global_load_u16 v6, v[4:5], off
	v_add_co_u32 v4, vcc_lo, s6, v2
	v_add_co_ci_u32_e32 v5, vcc_lo, s7, v3, vcc_lo
	global_load_u16 v4, v[4:5], off
	s_waitcnt vmcnt(1)
	v_lshlrev_b32_e32 v5, 16, v6
	s_delay_alu instid0(VALU_DEP_1) | instskip(NEXT) | instid1(VALU_DEP_1)
	v_mul_f32_e32 v6, 0x3f3504f3, v5
	v_cmp_nlt_f32_e64 s0, |v6|, 1.0
	s_delay_alu instid0(VALU_DEP_1) | instskip(NEXT) | instid1(SALU_CYCLE_1)
	s_and_saveexec_b32 s14, s0
	s_xor_b32 s0, exec_lo, s14
	s_cbranch_execz .LBB8_14
; %bb.13:                               ;   in Loop: Header=BB8_12 Depth=1
	v_fma_f32 v7, |v6|, s12, 0xb9c68948
	s_delay_alu instid0(VALU_DEP_1) | instskip(NEXT) | instid1(VALU_DEP_1)
	v_fma_f32 v7, |v6|, v7, 0x3b7cd369
	v_fma_f32 v7, |v6|, v7, 0xbcc618b2
	s_delay_alu instid0(VALU_DEP_1) | instskip(NEXT) | instid1(VALU_DEP_1)
	v_fma_f32 v7, |v6|, v7, 0x3dda74e4
	;; [unrolled: 3-line block ×3, first 2 shown]
	v_fma_f32 v7, |v6|, v7, |v6|
	s_delay_alu instid0(VALU_DEP_1) | instskip(SKIP_1) | instid1(VALU_DEP_2)
	v_mul_f32_e32 v8, 0xbfb8aa3b, v7
	v_cmp_nlt_f32_e32 vcc_lo, 0x42ce8ed0, v7
	v_fma_f32 v9, 0xbfb8aa3b, v7, -v8
	v_rndne_f32_e32 v10, v8
	s_delay_alu instid0(VALU_DEP_1) | instskip(NEXT) | instid1(VALU_DEP_1)
	v_dual_fmac_f32 v9, 0xb2a5705f, v7 :: v_dual_sub_f32 v8, v8, v10
	v_add_f32_e32 v8, v8, v9
	v_cvt_i32_f32_e32 v9, v10
	s_delay_alu instid0(VALU_DEP_2) | instskip(SKIP_2) | instid1(VALU_DEP_1)
	v_exp_f32_e32 v8, v8
	s_waitcnt_depctr 0xfff
	v_ldexp_f32 v8, v8, v9
	v_cndmask_b32_e32 v8, 0, v8, vcc_lo
	v_cmp_ngt_f32_e32 vcc_lo, 0xc2b17218, v7
	s_delay_alu instid0(VALU_DEP_2) | instskip(NEXT) | instid1(VALU_DEP_1)
	v_cndmask_b32_e32 v7, 0x7f800000, v8, vcc_lo
	v_sub_f32_e32 v7, 1.0, v7
.LBB8_14:                               ;   in Loop: Header=BB8_12 Depth=1
	s_and_not1_saveexec_b32 s0, s0
	s_cbranch_execz .LBB8_11
; %bb.15:                               ;   in Loop: Header=BB8_12 Depth=1
	v_mul_f32_e32 v7, v6, v6
	s_delay_alu instid0(VALU_DEP_1) | instskip(NEXT) | instid1(VALU_DEP_1)
	v_fmaak_f32 v8, s13, v7, 0x3ba10414
	v_fmaak_f32 v8, v7, v8, 0xbcdac9b8
	s_delay_alu instid0(VALU_DEP_1) | instskip(NEXT) | instid1(VALU_DEP_1)
	v_fmaak_f32 v8, v7, v8, 0x3de703be
	v_fmaak_f32 v8, v7, v8, 0xbec09330
	s_delay_alu instid0(VALU_DEP_1) | instskip(NEXT) | instid1(VALU_DEP_1)
	v_fmaak_f32 v7, v7, v8, 0x3e0375d0
	v_fma_f32 v7, |v6|, v7, |v6|
	s_branch .LBB8_11
.LBB8_16:
	s_nop 0
	s_sendmsg sendmsg(MSG_DEALLOC_VGPRS)
	s_endpgm
	.section	.rodata,"a",@progbits
	.p2align	6, 0x0
	.amdhsa_kernel _ZN4vllm18act_and_mul_kernelIN3c108BFloat16ETnPFT_RKS3_EXadL_ZNS_11gelu_kernelIS2_EES3_S5_EELb1EEEvPS3_PS4_i
		.amdhsa_group_segment_fixed_size 0
		.amdhsa_private_segment_fixed_size 0
		.amdhsa_kernarg_size 280
		.amdhsa_user_sgpr_count 15
		.amdhsa_user_sgpr_dispatch_ptr 0
		.amdhsa_user_sgpr_queue_ptr 0
		.amdhsa_user_sgpr_kernarg_segment_ptr 1
		.amdhsa_user_sgpr_dispatch_id 0
		.amdhsa_user_sgpr_private_segment_size 0
		.amdhsa_wavefront_size32 1
		.amdhsa_uses_dynamic_stack 0
		.amdhsa_enable_private_segment 0
		.amdhsa_system_sgpr_workgroup_id_x 1
		.amdhsa_system_sgpr_workgroup_id_y 0
		.amdhsa_system_sgpr_workgroup_id_z 0
		.amdhsa_system_sgpr_workgroup_info 0
		.amdhsa_system_vgpr_workitem_id 0
		.amdhsa_next_free_vgpr 27
		.amdhsa_next_free_sgpr 16
		.amdhsa_reserve_vcc 1
		.amdhsa_float_round_mode_32 0
		.amdhsa_float_round_mode_16_64 0
		.amdhsa_float_denorm_mode_32 3
		.amdhsa_float_denorm_mode_16_64 3
		.amdhsa_dx10_clamp 1
		.amdhsa_ieee_mode 1
		.amdhsa_fp16_overflow 0
		.amdhsa_workgroup_processor_mode 1
		.amdhsa_memory_ordered 1
		.amdhsa_forward_progress 0
		.amdhsa_shared_vgpr_count 0
		.amdhsa_exception_fp_ieee_invalid_op 0
		.amdhsa_exception_fp_denorm_src 0
		.amdhsa_exception_fp_ieee_div_zero 0
		.amdhsa_exception_fp_ieee_overflow 0
		.amdhsa_exception_fp_ieee_underflow 0
		.amdhsa_exception_fp_ieee_inexact 0
		.amdhsa_exception_int_div_zero 0
	.end_amdhsa_kernel
	.section	.text._ZN4vllm18act_and_mul_kernelIN3c108BFloat16ETnPFT_RKS3_EXadL_ZNS_11gelu_kernelIS2_EES3_S5_EELb1EEEvPS3_PS4_i,"axG",@progbits,_ZN4vllm18act_and_mul_kernelIN3c108BFloat16ETnPFT_RKS3_EXadL_ZNS_11gelu_kernelIS2_EES3_S5_EELb1EEEvPS3_PS4_i,comdat
.Lfunc_end8:
	.size	_ZN4vllm18act_and_mul_kernelIN3c108BFloat16ETnPFT_RKS3_EXadL_ZNS_11gelu_kernelIS2_EES3_S5_EELb1EEEvPS3_PS4_i, .Lfunc_end8-_ZN4vllm18act_and_mul_kernelIN3c108BFloat16ETnPFT_RKS3_EXadL_ZNS_11gelu_kernelIS2_EES3_S5_EELb1EEEvPS3_PS4_i
                                        ; -- End function
	.section	.AMDGPU.csdata,"",@progbits
; Kernel info:
; codeLenInByte = 2864
; NumSgprs: 18
; NumVgprs: 27
; ScratchSize: 0
; MemoryBound: 0
; FloatMode: 240
; IeeeMode: 1
; LDSByteSize: 0 bytes/workgroup (compile time only)
; SGPRBlocks: 2
; VGPRBlocks: 3
; NumSGPRsForWavesPerEU: 18
; NumVGPRsForWavesPerEU: 27
; Occupancy: 16
; WaveLimiterHint : 0
; COMPUTE_PGM_RSRC2:SCRATCH_EN: 0
; COMPUTE_PGM_RSRC2:USER_SGPR: 15
; COMPUTE_PGM_RSRC2:TRAP_HANDLER: 0
; COMPUTE_PGM_RSRC2:TGID_X_EN: 1
; COMPUTE_PGM_RSRC2:TGID_Y_EN: 0
; COMPUTE_PGM_RSRC2:TGID_Z_EN: 0
; COMPUTE_PGM_RSRC2:TIDIG_COMP_CNT: 0
	.section	.text._ZN4vllm18act_and_mul_kernelIfTnPFT_RKS1_EXadL_ZNS_16gelu_tanh_kernelIfEES1_S3_EELb1EEEvPS1_PS2_i,"axG",@progbits,_ZN4vllm18act_and_mul_kernelIfTnPFT_RKS1_EXadL_ZNS_16gelu_tanh_kernelIfEES1_S3_EELb1EEEvPS1_PS2_i,comdat
	.protected	_ZN4vllm18act_and_mul_kernelIfTnPFT_RKS1_EXadL_ZNS_16gelu_tanh_kernelIfEES1_S3_EELb1EEEvPS1_PS2_i ; -- Begin function _ZN4vllm18act_and_mul_kernelIfTnPFT_RKS1_EXadL_ZNS_16gelu_tanh_kernelIfEES1_S3_EELb1EEEvPS1_PS2_i
	.globl	_ZN4vllm18act_and_mul_kernelIfTnPFT_RKS1_EXadL_ZNS_16gelu_tanh_kernelIfEES1_S3_EELb1EEEvPS1_PS2_i
	.p2align	8
	.type	_ZN4vllm18act_and_mul_kernelIfTnPFT_RKS1_EXadL_ZNS_16gelu_tanh_kernelIfEES1_S3_EELb1EEEvPS1_PS2_i,@function
_ZN4vllm18act_and_mul_kernelIfTnPFT_RKS1_EXadL_ZNS_16gelu_tanh_kernelIfEES1_S3_EELb1EEEvPS1_PS2_i: ; @_ZN4vllm18act_and_mul_kernelIfTnPFT_RKS1_EXadL_ZNS_16gelu_tanh_kernelIfEES1_S3_EELb1EEEvPS1_PS2_i
; %bb.0:
	s_load_b32 s2, s[0:1], 0x10
	s_mov_b32 s3, exec_lo
	s_waitcnt lgkmcnt(0)
	v_cmpx_gt_i32_e64 s2, v0
	s_cbranch_execz .LBB9_7
; %bb.1:
	s_clause 0x1
	s_load_b128 s[8:11], s[0:1], 0x0
	s_load_b32 s0, s[0:1], 0x24
	s_ashr_i32 s3, s2, 31
	s_mul_hi_u32 s1, s15, s2
	s_mul_i32 s4, s15, s3
	s_mul_i32 s12, s15, s2
	s_add_i32 s13, s1, s4
	v_dual_mov_b32 v1, 0 :: v_dual_lshlrev_b32 v2, 2, v0
	s_lshl_b64 s[4:5], s[12:13], 3
	s_delay_alu instid0(VALU_DEP_1) | instskip(SKIP_4) | instid1(SALU_CYCLE_1)
	v_mov_b32_e32 v3, v1
	s_waitcnt lgkmcnt(0)
	s_add_u32 s1, s10, s4
	s_addc_u32 s4, s11, s5
	s_lshl_b64 s[6:7], s[2:3], 2
	s_add_u32 s5, s1, s6
	s_addc_u32 s6, s4, s7
	s_lshl_b64 s[10:11], s[12:13], 2
	s_mov_b32 s12, 0xbbbac73d
	s_add_u32 s7, s8, s10
	s_addc_u32 s8, s9, s11
	s_and_b32 s9, s0, 0xffff
	s_mov_b32 s10, 0
	s_lshl_b32 s11, s9, 2
	s_branch .LBB9_3
.LBB9_2:                                ;   in Loop: Header=BB9_3 Depth=1
	s_or_b32 exec_lo, exec_lo, s0
	s_waitcnt_depctr 0xfff
	v_bfi_b32 v6, 0x7fffffff, v7, v6
	v_mul_f32_e32 v5, 0.5, v5
	v_add_co_u32 v0, vcc_lo, v0, s9
	v_add_co_ci_u32_e32 v1, vcc_lo, 0, v1, vcc_lo
	s_delay_alu instid0(VALU_DEP_4) | instskip(NEXT) | instid1(VALU_DEP_1)
	v_add_f32_e32 v6, 1.0, v6
	v_mul_f32_e32 v7, v5, v6
	v_add_co_u32 v5, vcc_lo, s7, v2
	v_add_co_ci_u32_e32 v6, vcc_lo, s8, v3, vcc_lo
	v_cmp_le_i64_e32 vcc_lo, s[2:3], v[0:1]
	v_add_co_u32 v2, s0, v2, s11
	s_waitcnt vmcnt(0)
	v_mul_f32_e32 v4, v4, v7
	v_add_co_ci_u32_e64 v3, s0, 0, v3, s0
	s_or_b32 s10, vcc_lo, s10
	global_store_b32 v[5:6], v4, off
	s_and_not1_b32 exec_lo, exec_lo, s10
	s_cbranch_execz .LBB9_7
.LBB9_3:                                ; =>This Inner Loop Header: Depth=1
	v_add_co_u32 v4, vcc_lo, s1, v2
	v_add_co_ci_u32_e32 v5, vcc_lo, s4, v3, vcc_lo
	v_add_co_u32 v6, vcc_lo, s5, v2
	v_add_co_ci_u32_e32 v7, vcc_lo, s6, v3, vcc_lo
	s_clause 0x1
	global_load_b32 v5, v[4:5], off
	global_load_b32 v4, v[6:7], off
                                        ; implicit-def: $vgpr7
	s_waitcnt vmcnt(1)
	v_mul_f32_e32 v6, v5, v5
	s_delay_alu instid0(VALU_DEP_1) | instskip(NEXT) | instid1(VALU_DEP_1)
	v_mul_f32_e32 v6, v5, v6
	v_fmamk_f32 v6, v6, 0x3d372713, v5
	s_delay_alu instid0(VALU_DEP_1) | instskip(NEXT) | instid1(VALU_DEP_1)
	v_mul_f32_e32 v6, 0x3f4c422a, v6
	v_cmp_ngt_f32_e64 s0, 0x3f200000, |v6|
	s_delay_alu instid0(VALU_DEP_1) | instskip(NEXT) | instid1(SALU_CYCLE_1)
	s_and_saveexec_b32 s13, s0
	s_xor_b32 s0, exec_lo, s13
	s_cbranch_execz .LBB9_5
; %bb.4:                                ;   in Loop: Header=BB9_3 Depth=1
	v_add_f32_e64 v7, |v6|, |v6|
	s_delay_alu instid0(VALU_DEP_1) | instskip(SKIP_1) | instid1(VALU_DEP_2)
	v_mul_f32_e32 v8, 0x3fb8aa3b, v7
	v_cmp_ngt_f32_e32 vcc_lo, 0xc2ce8ed0, v7
	v_rndne_f32_e32 v9, v8
	v_fma_f32 v10, 0x3fb8aa3b, v7, -v8
	s_delay_alu instid0(VALU_DEP_2) | instskip(NEXT) | instid1(VALU_DEP_2)
	v_sub_f32_e32 v8, v8, v9
	v_fmac_f32_e32 v10, 0x32a5705f, v7
	v_cvt_i32_f32_e32 v9, v9
	s_delay_alu instid0(VALU_DEP_2) | instskip(NEXT) | instid1(VALU_DEP_1)
	v_add_f32_e32 v8, v8, v10
	v_exp_f32_e32 v8, v8
	s_waitcnt_depctr 0xfff
	v_ldexp_f32 v8, v8, v9
	s_delay_alu instid0(VALU_DEP_1) | instskip(SKIP_1) | instid1(VALU_DEP_2)
	v_cndmask_b32_e32 v8, 0, v8, vcc_lo
	v_cmp_nlt_f32_e32 vcc_lo, 0x42b17218, v7
	v_cndmask_b32_e32 v7, 0x7f800000, v8, vcc_lo
	s_delay_alu instid0(VALU_DEP_1) | instskip(NEXT) | instid1(VALU_DEP_1)
	v_add_f32_e32 v7, 1.0, v7
	v_rcp_f32_e32 v7, v7
	s_waitcnt_depctr 0xfff
	v_fma_f32 v7, v7, -2.0, 1.0
.LBB9_5:                                ;   in Loop: Header=BB9_3 Depth=1
	s_and_not1_saveexec_b32 s0, s0
	s_cbranch_execz .LBB9_2
; %bb.6:                                ;   in Loop: Header=BB9_3 Depth=1
	v_mul_f32_e32 v7, v6, v6
	s_delay_alu instid0(VALU_DEP_1) | instskip(NEXT) | instid1(VALU_DEP_1)
	v_fmaak_f32 v8, s12, v7, 0x3ca908c9
	v_fmaak_f32 v8, v7, v8, 0xbd5c1c4e
	s_delay_alu instid0(VALU_DEP_1) | instskip(NEXT) | instid1(VALU_DEP_1)
	v_fmaak_f32 v8, v7, v8, 0x3e088382
	v_fmaak_f32 v8, v7, v8, 0xbeaaaa99
	s_delay_alu instid0(VALU_DEP_1) | instskip(NEXT) | instid1(VALU_DEP_1)
	v_mul_f32_e64 v8, |v6|, v8
	v_fma_f32 v7, v7, v8, |v6|
	s_branch .LBB9_2
.LBB9_7:
	s_nop 0
	s_sendmsg sendmsg(MSG_DEALLOC_VGPRS)
	s_endpgm
	.section	.rodata,"a",@progbits
	.p2align	6, 0x0
	.amdhsa_kernel _ZN4vllm18act_and_mul_kernelIfTnPFT_RKS1_EXadL_ZNS_16gelu_tanh_kernelIfEES1_S3_EELb1EEEvPS1_PS2_i
		.amdhsa_group_segment_fixed_size 0
		.amdhsa_private_segment_fixed_size 0
		.amdhsa_kernarg_size 280
		.amdhsa_user_sgpr_count 15
		.amdhsa_user_sgpr_dispatch_ptr 0
		.amdhsa_user_sgpr_queue_ptr 0
		.amdhsa_user_sgpr_kernarg_segment_ptr 1
		.amdhsa_user_sgpr_dispatch_id 0
		.amdhsa_user_sgpr_private_segment_size 0
		.amdhsa_wavefront_size32 1
		.amdhsa_uses_dynamic_stack 0
		.amdhsa_enable_private_segment 0
		.amdhsa_system_sgpr_workgroup_id_x 1
		.amdhsa_system_sgpr_workgroup_id_y 0
		.amdhsa_system_sgpr_workgroup_id_z 0
		.amdhsa_system_sgpr_workgroup_info 0
		.amdhsa_system_vgpr_workitem_id 0
		.amdhsa_next_free_vgpr 11
		.amdhsa_next_free_sgpr 16
		.amdhsa_reserve_vcc 1
		.amdhsa_float_round_mode_32 0
		.amdhsa_float_round_mode_16_64 0
		.amdhsa_float_denorm_mode_32 3
		.amdhsa_float_denorm_mode_16_64 3
		.amdhsa_dx10_clamp 1
		.amdhsa_ieee_mode 1
		.amdhsa_fp16_overflow 0
		.amdhsa_workgroup_processor_mode 1
		.amdhsa_memory_ordered 1
		.amdhsa_forward_progress 0
		.amdhsa_shared_vgpr_count 0
		.amdhsa_exception_fp_ieee_invalid_op 0
		.amdhsa_exception_fp_denorm_src 0
		.amdhsa_exception_fp_ieee_div_zero 0
		.amdhsa_exception_fp_ieee_overflow 0
		.amdhsa_exception_fp_ieee_underflow 0
		.amdhsa_exception_fp_ieee_inexact 0
		.amdhsa_exception_int_div_zero 0
	.end_amdhsa_kernel
	.section	.text._ZN4vllm18act_and_mul_kernelIfTnPFT_RKS1_EXadL_ZNS_16gelu_tanh_kernelIfEES1_S3_EELb1EEEvPS1_PS2_i,"axG",@progbits,_ZN4vllm18act_and_mul_kernelIfTnPFT_RKS1_EXadL_ZNS_16gelu_tanh_kernelIfEES1_S3_EELb1EEEvPS1_PS2_i,comdat
.Lfunc_end9:
	.size	_ZN4vllm18act_and_mul_kernelIfTnPFT_RKS1_EXadL_ZNS_16gelu_tanh_kernelIfEES1_S3_EELb1EEEvPS1_PS2_i, .Lfunc_end9-_ZN4vllm18act_and_mul_kernelIfTnPFT_RKS1_EXadL_ZNS_16gelu_tanh_kernelIfEES1_S3_EELb1EEEvPS1_PS2_i
                                        ; -- End function
	.section	.AMDGPU.csdata,"",@progbits
; Kernel info:
; codeLenInByte = 592
; NumSgprs: 18
; NumVgprs: 11
; ScratchSize: 0
; MemoryBound: 0
; FloatMode: 240
; IeeeMode: 1
; LDSByteSize: 0 bytes/workgroup (compile time only)
; SGPRBlocks: 2
; VGPRBlocks: 1
; NumSGPRsForWavesPerEU: 18
; NumVGPRsForWavesPerEU: 11
; Occupancy: 16
; WaveLimiterHint : 0
; COMPUTE_PGM_RSRC2:SCRATCH_EN: 0
; COMPUTE_PGM_RSRC2:USER_SGPR: 15
; COMPUTE_PGM_RSRC2:TRAP_HANDLER: 0
; COMPUTE_PGM_RSRC2:TGID_X_EN: 1
; COMPUTE_PGM_RSRC2:TGID_Y_EN: 0
; COMPUTE_PGM_RSRC2:TGID_Z_EN: 0
; COMPUTE_PGM_RSRC2:TIDIG_COMP_CNT: 0
	.section	.text._ZN4vllm18act_and_mul_kernelIN3c104HalfETnPFT_RKS3_EXadL_ZNS_16gelu_tanh_kernelIS2_EES3_S5_EELb1EEEvPS3_PS4_i,"axG",@progbits,_ZN4vllm18act_and_mul_kernelIN3c104HalfETnPFT_RKS3_EXadL_ZNS_16gelu_tanh_kernelIS2_EES3_S5_EELb1EEEvPS3_PS4_i,comdat
	.protected	_ZN4vllm18act_and_mul_kernelIN3c104HalfETnPFT_RKS3_EXadL_ZNS_16gelu_tanh_kernelIS2_EES3_S5_EELb1EEEvPS3_PS4_i ; -- Begin function _ZN4vllm18act_and_mul_kernelIN3c104HalfETnPFT_RKS3_EXadL_ZNS_16gelu_tanh_kernelIS2_EES3_S5_EELb1EEEvPS3_PS4_i
	.globl	_ZN4vllm18act_and_mul_kernelIN3c104HalfETnPFT_RKS3_EXadL_ZNS_16gelu_tanh_kernelIS2_EES3_S5_EELb1EEEvPS3_PS4_i
	.p2align	8
	.type	_ZN4vllm18act_and_mul_kernelIN3c104HalfETnPFT_RKS3_EXadL_ZNS_16gelu_tanh_kernelIS2_EES3_S5_EELb1EEEvPS3_PS4_i,@function
_ZN4vllm18act_and_mul_kernelIN3c104HalfETnPFT_RKS3_EXadL_ZNS_16gelu_tanh_kernelIS2_EES3_S5_EELb1EEEvPS3_PS4_i: ; @_ZN4vllm18act_and_mul_kernelIN3c104HalfETnPFT_RKS3_EXadL_ZNS_16gelu_tanh_kernelIS2_EES3_S5_EELb1EEEvPS3_PS4_i
; %bb.0:
	s_load_b32 s2, s[0:1], 0x10
	s_mov_b32 s3, exec_lo
	s_waitcnt lgkmcnt(0)
	v_cmpx_gt_i32_e64 s2, v0
	s_cbranch_execz .LBB10_7
; %bb.1:
	s_clause 0x1
	s_load_b128 s[8:11], s[0:1], 0x0
	s_load_b32 s0, s[0:1], 0x24
	s_ashr_i32 s3, s2, 31
	s_mul_hi_u32 s1, s15, s2
	s_mul_i32 s4, s15, s3
	s_mul_i32 s12, s15, s2
	s_add_i32 s13, s1, s4
	v_dual_mov_b32 v1, 0 :: v_dual_lshlrev_b32 v2, 1, v0
	s_lshl_b64 s[4:5], s[12:13], 2
	s_mov_b32 s1, 0
	s_delay_alu instid0(VALU_DEP_1) | instskip(SKIP_4) | instid1(SALU_CYCLE_1)
	v_mov_b32_e32 v3, v1
	s_waitcnt lgkmcnt(0)
	s_add_u32 s4, s10, s4
	s_addc_u32 s5, s11, s5
	s_lshl_b64 s[6:7], s[2:3], 1
	s_add_u32 s6, s4, s6
	s_addc_u32 s7, s5, s7
	s_lshl_b64 s[10:11], s[12:13], 1
	s_mov_b32 s13, 0xbbbac73d
	s_add_u32 s8, s8, s10
	s_addc_u32 s9, s9, s11
	s_and_b32 s10, s0, 0xffff
	s_mov_b32 s11, 0x3d372713
	s_lshl_b32 s12, s10, 1
	s_branch .LBB10_3
.LBB10_2:                               ;   in Loop: Header=BB10_3 Depth=1
	s_or_b32 exec_lo, exec_lo, s0
	s_waitcnt_depctr 0xfff
	v_bfi_b32 v6, 0x7fffffff, v7, v6
	v_mul_f32_e32 v5, 0.5, v5
	v_add_co_u32 v0, vcc_lo, v0, s10
	v_add_co_ci_u32_e32 v1, vcc_lo, 0, v1, vcc_lo
	s_delay_alu instid0(VALU_DEP_4) | instskip(NEXT) | instid1(VALU_DEP_1)
	v_add_f32_e32 v6, 1.0, v6
	v_fma_mixlo_f16 v7, v5, v6, 0
	v_add_co_u32 v5, vcc_lo, s8, v2
	v_add_co_ci_u32_e32 v6, vcc_lo, s9, v3, vcc_lo
	v_cmp_le_i64_e32 vcc_lo, s[2:3], v[0:1]
	v_add_co_u32 v2, s0, v2, s12
	s_waitcnt vmcnt(0)
	v_mul_f16_e32 v4, v4, v7
	v_add_co_ci_u32_e64 v3, s0, 0, v3, s0
	s_or_b32 s1, vcc_lo, s1
	global_store_b16 v[5:6], v4, off
	s_and_not1_b32 exec_lo, exec_lo, s1
	s_cbranch_execz .LBB10_7
.LBB10_3:                               ; =>This Inner Loop Header: Depth=1
	v_add_co_u32 v4, vcc_lo, s4, v2
	v_add_co_ci_u32_e32 v5, vcc_lo, s5, v3, vcc_lo
	global_load_u16 v6, v[4:5], off
	v_add_co_u32 v4, vcc_lo, s6, v2
	v_add_co_ci_u32_e32 v5, vcc_lo, s7, v3, vcc_lo
	global_load_u16 v4, v[4:5], off
	s_waitcnt vmcnt(1)
	v_cvt_f32_f16_e32 v5, v6
	s_delay_alu instid0(VALU_DEP_1) | instskip(NEXT) | instid1(VALU_DEP_1)
	v_mul_f32_e32 v7, v5, v5
	v_mul_f32_e32 v7, v7, v5
	s_delay_alu instid0(VALU_DEP_1) | instskip(NEXT) | instid1(VALU_DEP_1)
	v_fma_mix_f32 v6, v7, s11, v6 op_sel_hi:[0,0,1]
                                        ; implicit-def: $vgpr7
	v_mul_f32_e32 v6, 0x3f4c422a, v6
	s_delay_alu instid0(VALU_DEP_1) | instskip(NEXT) | instid1(VALU_DEP_1)
	v_cmp_ngt_f32_e64 s0, 0x3f200000, |v6|
	s_and_saveexec_b32 s14, s0
	s_delay_alu instid0(SALU_CYCLE_1)
	s_xor_b32 s0, exec_lo, s14
	s_cbranch_execz .LBB10_5
; %bb.4:                                ;   in Loop: Header=BB10_3 Depth=1
	v_add_f32_e64 v7, |v6|, |v6|
	s_delay_alu instid0(VALU_DEP_1) | instskip(SKIP_1) | instid1(VALU_DEP_2)
	v_mul_f32_e32 v8, 0x3fb8aa3b, v7
	v_cmp_ngt_f32_e32 vcc_lo, 0xc2ce8ed0, v7
	v_rndne_f32_e32 v9, v8
	v_fma_f32 v10, 0x3fb8aa3b, v7, -v8
	s_delay_alu instid0(VALU_DEP_2) | instskip(NEXT) | instid1(VALU_DEP_2)
	v_sub_f32_e32 v8, v8, v9
	v_fmac_f32_e32 v10, 0x32a5705f, v7
	v_cvt_i32_f32_e32 v9, v9
	s_delay_alu instid0(VALU_DEP_2) | instskip(NEXT) | instid1(VALU_DEP_1)
	v_add_f32_e32 v8, v8, v10
	v_exp_f32_e32 v8, v8
	s_waitcnt_depctr 0xfff
	v_ldexp_f32 v8, v8, v9
	s_delay_alu instid0(VALU_DEP_1) | instskip(SKIP_1) | instid1(VALU_DEP_2)
	v_cndmask_b32_e32 v8, 0, v8, vcc_lo
	v_cmp_nlt_f32_e32 vcc_lo, 0x42b17218, v7
	v_cndmask_b32_e32 v7, 0x7f800000, v8, vcc_lo
	s_delay_alu instid0(VALU_DEP_1) | instskip(NEXT) | instid1(VALU_DEP_1)
	v_add_f32_e32 v7, 1.0, v7
	v_rcp_f32_e32 v7, v7
	s_waitcnt_depctr 0xfff
	v_fma_f32 v7, v7, -2.0, 1.0
.LBB10_5:                               ;   in Loop: Header=BB10_3 Depth=1
	s_and_not1_saveexec_b32 s0, s0
	s_cbranch_execz .LBB10_2
; %bb.6:                                ;   in Loop: Header=BB10_3 Depth=1
	v_mul_f32_e32 v7, v6, v6
	s_delay_alu instid0(VALU_DEP_1) | instskip(NEXT) | instid1(VALU_DEP_1)
	v_fmaak_f32 v8, s13, v7, 0x3ca908c9
	v_fmaak_f32 v8, v7, v8, 0xbd5c1c4e
	s_delay_alu instid0(VALU_DEP_1) | instskip(NEXT) | instid1(VALU_DEP_1)
	v_fmaak_f32 v8, v7, v8, 0x3e088382
	v_fmaak_f32 v8, v7, v8, 0xbeaaaa99
	s_delay_alu instid0(VALU_DEP_1) | instskip(NEXT) | instid1(VALU_DEP_1)
	v_mul_f32_e64 v8, |v6|, v8
	v_fma_f32 v7, v7, v8, |v6|
	s_branch .LBB10_2
.LBB10_7:
	s_nop 0
	s_sendmsg sendmsg(MSG_DEALLOC_VGPRS)
	s_endpgm
	.section	.rodata,"a",@progbits
	.p2align	6, 0x0
	.amdhsa_kernel _ZN4vllm18act_and_mul_kernelIN3c104HalfETnPFT_RKS3_EXadL_ZNS_16gelu_tanh_kernelIS2_EES3_S5_EELb1EEEvPS3_PS4_i
		.amdhsa_group_segment_fixed_size 0
		.amdhsa_private_segment_fixed_size 0
		.amdhsa_kernarg_size 280
		.amdhsa_user_sgpr_count 15
		.amdhsa_user_sgpr_dispatch_ptr 0
		.amdhsa_user_sgpr_queue_ptr 0
		.amdhsa_user_sgpr_kernarg_segment_ptr 1
		.amdhsa_user_sgpr_dispatch_id 0
		.amdhsa_user_sgpr_private_segment_size 0
		.amdhsa_wavefront_size32 1
		.amdhsa_uses_dynamic_stack 0
		.amdhsa_enable_private_segment 0
		.amdhsa_system_sgpr_workgroup_id_x 1
		.amdhsa_system_sgpr_workgroup_id_y 0
		.amdhsa_system_sgpr_workgroup_id_z 0
		.amdhsa_system_sgpr_workgroup_info 0
		.amdhsa_system_vgpr_workitem_id 0
		.amdhsa_next_free_vgpr 11
		.amdhsa_next_free_sgpr 16
		.amdhsa_reserve_vcc 1
		.amdhsa_float_round_mode_32 0
		.amdhsa_float_round_mode_16_64 0
		.amdhsa_float_denorm_mode_32 3
		.amdhsa_float_denorm_mode_16_64 3
		.amdhsa_dx10_clamp 1
		.amdhsa_ieee_mode 1
		.amdhsa_fp16_overflow 0
		.amdhsa_workgroup_processor_mode 1
		.amdhsa_memory_ordered 1
		.amdhsa_forward_progress 0
		.amdhsa_shared_vgpr_count 0
		.amdhsa_exception_fp_ieee_invalid_op 0
		.amdhsa_exception_fp_denorm_src 0
		.amdhsa_exception_fp_ieee_div_zero 0
		.amdhsa_exception_fp_ieee_overflow 0
		.amdhsa_exception_fp_ieee_underflow 0
		.amdhsa_exception_fp_ieee_inexact 0
		.amdhsa_exception_int_div_zero 0
	.end_amdhsa_kernel
	.section	.text._ZN4vllm18act_and_mul_kernelIN3c104HalfETnPFT_RKS3_EXadL_ZNS_16gelu_tanh_kernelIS2_EES3_S5_EELb1EEEvPS3_PS4_i,"axG",@progbits,_ZN4vllm18act_and_mul_kernelIN3c104HalfETnPFT_RKS3_EXadL_ZNS_16gelu_tanh_kernelIS2_EES3_S5_EELb1EEEvPS3_PS4_i,comdat
.Lfunc_end10:
	.size	_ZN4vllm18act_and_mul_kernelIN3c104HalfETnPFT_RKS3_EXadL_ZNS_16gelu_tanh_kernelIS2_EES3_S5_EELb1EEEvPS3_PS4_i, .Lfunc_end10-_ZN4vllm18act_and_mul_kernelIN3c104HalfETnPFT_RKS3_EXadL_ZNS_16gelu_tanh_kernelIS2_EES3_S5_EELb1EEEvPS3_PS4_i
                                        ; -- End function
	.section	.AMDGPU.csdata,"",@progbits
; Kernel info:
; codeLenInByte = 608
; NumSgprs: 18
; NumVgprs: 11
; ScratchSize: 0
; MemoryBound: 0
; FloatMode: 240
; IeeeMode: 1
; LDSByteSize: 0 bytes/workgroup (compile time only)
; SGPRBlocks: 2
; VGPRBlocks: 1
; NumSGPRsForWavesPerEU: 18
; NumVGPRsForWavesPerEU: 11
; Occupancy: 16
; WaveLimiterHint : 0
; COMPUTE_PGM_RSRC2:SCRATCH_EN: 0
; COMPUTE_PGM_RSRC2:USER_SGPR: 15
; COMPUTE_PGM_RSRC2:TRAP_HANDLER: 0
; COMPUTE_PGM_RSRC2:TGID_X_EN: 1
; COMPUTE_PGM_RSRC2:TGID_Y_EN: 0
; COMPUTE_PGM_RSRC2:TGID_Z_EN: 0
; COMPUTE_PGM_RSRC2:TIDIG_COMP_CNT: 0
	.section	.text._ZN4vllm18act_and_mul_kernelIN3c108BFloat16ETnPFT_RKS3_EXadL_ZNS_16gelu_tanh_kernelIS2_EES3_S5_EELb1EEEvPS3_PS4_i,"axG",@progbits,_ZN4vllm18act_and_mul_kernelIN3c108BFloat16ETnPFT_RKS3_EXadL_ZNS_16gelu_tanh_kernelIS2_EES3_S5_EELb1EEEvPS3_PS4_i,comdat
	.protected	_ZN4vllm18act_and_mul_kernelIN3c108BFloat16ETnPFT_RKS3_EXadL_ZNS_16gelu_tanh_kernelIS2_EES3_S5_EELb1EEEvPS3_PS4_i ; -- Begin function _ZN4vllm18act_and_mul_kernelIN3c108BFloat16ETnPFT_RKS3_EXadL_ZNS_16gelu_tanh_kernelIS2_EES3_S5_EELb1EEEvPS3_PS4_i
	.globl	_ZN4vllm18act_and_mul_kernelIN3c108BFloat16ETnPFT_RKS3_EXadL_ZNS_16gelu_tanh_kernelIS2_EES3_S5_EELb1EEEvPS3_PS4_i
	.p2align	8
	.type	_ZN4vllm18act_and_mul_kernelIN3c108BFloat16ETnPFT_RKS3_EXadL_ZNS_16gelu_tanh_kernelIS2_EES3_S5_EELb1EEEvPS3_PS4_i,@function
_ZN4vllm18act_and_mul_kernelIN3c108BFloat16ETnPFT_RKS3_EXadL_ZNS_16gelu_tanh_kernelIS2_EES3_S5_EELb1EEEvPS3_PS4_i: ; @_ZN4vllm18act_and_mul_kernelIN3c108BFloat16ETnPFT_RKS3_EXadL_ZNS_16gelu_tanh_kernelIS2_EES3_S5_EELb1EEEvPS3_PS4_i
; %bb.0:
	s_load_b32 s2, s[0:1], 0x10
	s_mov_b32 s3, exec_lo
	s_waitcnt lgkmcnt(0)
	v_cmpx_gt_i32_e64 s2, v0
	s_cbranch_execz .LBB11_7
; %bb.1:
	s_clause 0x1
	s_load_b128 s[8:11], s[0:1], 0x0
	s_load_b32 s0, s[0:1], 0x24
	s_ashr_i32 s3, s2, 31
	s_mul_hi_u32 s1, s15, s2
	s_mul_i32 s4, s15, s3
	s_mul_i32 s12, s15, s2
	s_add_i32 s13, s1, s4
	v_dual_mov_b32 v1, 0 :: v_dual_lshlrev_b32 v2, 1, v0
	s_lshl_b64 s[4:5], s[12:13], 2
	s_delay_alu instid0(VALU_DEP_1) | instskip(SKIP_4) | instid1(SALU_CYCLE_1)
	v_mov_b32_e32 v3, v1
	s_waitcnt lgkmcnt(0)
	s_add_u32 s1, s10, s4
	s_addc_u32 s4, s11, s5
	s_lshl_b64 s[6:7], s[2:3], 1
	s_add_u32 s5, s1, s6
	s_addc_u32 s6, s4, s7
	s_lshl_b64 s[10:11], s[12:13], 1
	s_mov_b32 s12, 0xbbbac73d
	s_add_u32 s7, s8, s10
	s_addc_u32 s8, s9, s11
	s_and_b32 s9, s0, 0xffff
	s_mov_b32 s10, 0
	s_lshl_b32 s11, s9, 1
	s_branch .LBB11_3
.LBB11_2:                               ;   in Loop: Header=BB11_3 Depth=1
	s_or_b32 exec_lo, exec_lo, s0
	s_waitcnt_depctr 0xfff
	v_bfi_b32 v6, 0x7fffffff, v7, v6
	s_waitcnt vmcnt(0)
	v_dual_mul_f32 v5, 0.5, v5 :: v_dual_lshlrev_b32 v4, 16, v4
	s_delay_alu instid0(VALU_DEP_2) | instskip(NEXT) | instid1(VALU_DEP_1)
	v_add_f32_e32 v6, 1.0, v6
	v_mul_f32_e32 v5, v5, v6
	s_delay_alu instid0(VALU_DEP_1) | instskip(SKIP_1) | instid1(VALU_DEP_2)
	v_bfe_u32 v6, v5, 16, 1
	v_cmp_o_f32_e32 vcc_lo, v5, v5
	v_add3_u32 v6, v5, v6, 0x7fff
	s_delay_alu instid0(VALU_DEP_1) | instskip(NEXT) | instid1(VALU_DEP_1)
	v_and_b32_e32 v6, 0xffff0000, v6
	v_cndmask_b32_e32 v5, 0x7fc00000, v6, vcc_lo
	v_add_co_u32 v0, vcc_lo, v0, s9
	v_add_co_ci_u32_e32 v1, vcc_lo, 0, v1, vcc_lo
	s_delay_alu instid0(VALU_DEP_3) | instskip(NEXT) | instid1(VALU_DEP_1)
	v_mul_f32_e32 v6, v5, v4
	v_bfe_u32 v4, v6, 16, 1
	v_cmp_o_f32_e64 s0, v6, v6
	s_delay_alu instid0(VALU_DEP_2) | instskip(NEXT) | instid1(VALU_DEP_1)
	v_add3_u32 v4, v6, v4, 0x7fff
	v_lshrrev_b32_e32 v7, 16, v4
	v_add_co_u32 v4, vcc_lo, s7, v2
	v_add_co_ci_u32_e32 v5, vcc_lo, s8, v3, vcc_lo
	v_cmp_le_i64_e32 vcc_lo, s[2:3], v[0:1]
	s_delay_alu instid0(VALU_DEP_4) | instskip(SKIP_1) | instid1(VALU_DEP_1)
	v_cndmask_b32_e64 v6, 0x7fc0, v7, s0
	v_add_co_u32 v2, s0, v2, s11
	v_add_co_ci_u32_e64 v3, s0, 0, v3, s0
	s_or_b32 s10, vcc_lo, s10
	global_store_b16 v[4:5], v6, off
	s_and_not1_b32 exec_lo, exec_lo, s10
	s_cbranch_execz .LBB11_7
.LBB11_3:                               ; =>This Inner Loop Header: Depth=1
	v_add_co_u32 v4, vcc_lo, s1, v2
	v_add_co_ci_u32_e32 v5, vcc_lo, s4, v3, vcc_lo
                                        ; implicit-def: $vgpr7
	global_load_u16 v6, v[4:5], off
	v_add_co_u32 v4, vcc_lo, s5, v2
	v_add_co_ci_u32_e32 v5, vcc_lo, s6, v3, vcc_lo
	global_load_u16 v4, v[4:5], off
	s_waitcnt vmcnt(1)
	v_lshlrev_b32_e32 v5, 16, v6
	s_delay_alu instid0(VALU_DEP_1) | instskip(NEXT) | instid1(VALU_DEP_1)
	v_mul_f32_e32 v6, v5, v5
	v_mul_f32_e32 v6, v6, v5
	s_delay_alu instid0(VALU_DEP_1) | instskip(NEXT) | instid1(VALU_DEP_1)
	v_fmamk_f32 v6, v6, 0x3d372713, v5
	v_mul_f32_e32 v6, 0x3f4c422a, v6
	s_delay_alu instid0(VALU_DEP_1) | instskip(NEXT) | instid1(VALU_DEP_1)
	v_cmp_ngt_f32_e64 s0, 0x3f200000, |v6|
	s_and_saveexec_b32 s13, s0
	s_delay_alu instid0(SALU_CYCLE_1)
	s_xor_b32 s0, exec_lo, s13
	s_cbranch_execz .LBB11_5
; %bb.4:                                ;   in Loop: Header=BB11_3 Depth=1
	v_add_f32_e64 v7, |v6|, |v6|
	s_delay_alu instid0(VALU_DEP_1) | instskip(SKIP_1) | instid1(VALU_DEP_2)
	v_mul_f32_e32 v8, 0x3fb8aa3b, v7
	v_cmp_ngt_f32_e32 vcc_lo, 0xc2ce8ed0, v7
	v_rndne_f32_e32 v9, v8
	v_fma_f32 v10, 0x3fb8aa3b, v7, -v8
	s_delay_alu instid0(VALU_DEP_2) | instskip(NEXT) | instid1(VALU_DEP_2)
	v_sub_f32_e32 v8, v8, v9
	v_fmac_f32_e32 v10, 0x32a5705f, v7
	v_cvt_i32_f32_e32 v9, v9
	s_delay_alu instid0(VALU_DEP_2) | instskip(NEXT) | instid1(VALU_DEP_1)
	v_add_f32_e32 v8, v8, v10
	v_exp_f32_e32 v8, v8
	s_waitcnt_depctr 0xfff
	v_ldexp_f32 v8, v8, v9
	s_delay_alu instid0(VALU_DEP_1) | instskip(SKIP_1) | instid1(VALU_DEP_2)
	v_cndmask_b32_e32 v8, 0, v8, vcc_lo
	v_cmp_nlt_f32_e32 vcc_lo, 0x42b17218, v7
	v_cndmask_b32_e32 v7, 0x7f800000, v8, vcc_lo
	s_delay_alu instid0(VALU_DEP_1) | instskip(NEXT) | instid1(VALU_DEP_1)
	v_add_f32_e32 v7, 1.0, v7
	v_rcp_f32_e32 v7, v7
	s_waitcnt_depctr 0xfff
	v_fma_f32 v7, v7, -2.0, 1.0
.LBB11_5:                               ;   in Loop: Header=BB11_3 Depth=1
	s_and_not1_saveexec_b32 s0, s0
	s_cbranch_execz .LBB11_2
; %bb.6:                                ;   in Loop: Header=BB11_3 Depth=1
	v_mul_f32_e32 v7, v6, v6
	s_delay_alu instid0(VALU_DEP_1) | instskip(NEXT) | instid1(VALU_DEP_1)
	v_fmaak_f32 v8, s12, v7, 0x3ca908c9
	v_fmaak_f32 v8, v7, v8, 0xbd5c1c4e
	s_delay_alu instid0(VALU_DEP_1) | instskip(NEXT) | instid1(VALU_DEP_1)
	v_fmaak_f32 v8, v7, v8, 0x3e088382
	v_fmaak_f32 v8, v7, v8, 0xbeaaaa99
	s_delay_alu instid0(VALU_DEP_1) | instskip(NEXT) | instid1(VALU_DEP_1)
	v_mul_f32_e64 v8, |v6|, v8
	v_fma_f32 v7, v7, v8, |v6|
	s_branch .LBB11_2
.LBB11_7:
	s_nop 0
	s_sendmsg sendmsg(MSG_DEALLOC_VGPRS)
	s_endpgm
	.section	.rodata,"a",@progbits
	.p2align	6, 0x0
	.amdhsa_kernel _ZN4vllm18act_and_mul_kernelIN3c108BFloat16ETnPFT_RKS3_EXadL_ZNS_16gelu_tanh_kernelIS2_EES3_S5_EELb1EEEvPS3_PS4_i
		.amdhsa_group_segment_fixed_size 0
		.amdhsa_private_segment_fixed_size 0
		.amdhsa_kernarg_size 280
		.amdhsa_user_sgpr_count 15
		.amdhsa_user_sgpr_dispatch_ptr 0
		.amdhsa_user_sgpr_queue_ptr 0
		.amdhsa_user_sgpr_kernarg_segment_ptr 1
		.amdhsa_user_sgpr_dispatch_id 0
		.amdhsa_user_sgpr_private_segment_size 0
		.amdhsa_wavefront_size32 1
		.amdhsa_uses_dynamic_stack 0
		.amdhsa_enable_private_segment 0
		.amdhsa_system_sgpr_workgroup_id_x 1
		.amdhsa_system_sgpr_workgroup_id_y 0
		.amdhsa_system_sgpr_workgroup_id_z 0
		.amdhsa_system_sgpr_workgroup_info 0
		.amdhsa_system_vgpr_workitem_id 0
		.amdhsa_next_free_vgpr 11
		.amdhsa_next_free_sgpr 16
		.amdhsa_reserve_vcc 1
		.amdhsa_float_round_mode_32 0
		.amdhsa_float_round_mode_16_64 0
		.amdhsa_float_denorm_mode_32 3
		.amdhsa_float_denorm_mode_16_64 3
		.amdhsa_dx10_clamp 1
		.amdhsa_ieee_mode 1
		.amdhsa_fp16_overflow 0
		.amdhsa_workgroup_processor_mode 1
		.amdhsa_memory_ordered 1
		.amdhsa_forward_progress 0
		.amdhsa_shared_vgpr_count 0
		.amdhsa_exception_fp_ieee_invalid_op 0
		.amdhsa_exception_fp_denorm_src 0
		.amdhsa_exception_fp_ieee_div_zero 0
		.amdhsa_exception_fp_ieee_overflow 0
		.amdhsa_exception_fp_ieee_underflow 0
		.amdhsa_exception_fp_ieee_inexact 0
		.amdhsa_exception_int_div_zero 0
	.end_amdhsa_kernel
	.section	.text._ZN4vllm18act_and_mul_kernelIN3c108BFloat16ETnPFT_RKS3_EXadL_ZNS_16gelu_tanh_kernelIS2_EES3_S5_EELb1EEEvPS3_PS4_i,"axG",@progbits,_ZN4vllm18act_and_mul_kernelIN3c108BFloat16ETnPFT_RKS3_EXadL_ZNS_16gelu_tanh_kernelIS2_EES3_S5_EELb1EEEvPS3_PS4_i,comdat
.Lfunc_end11:
	.size	_ZN4vllm18act_and_mul_kernelIN3c108BFloat16ETnPFT_RKS3_EXadL_ZNS_16gelu_tanh_kernelIS2_EES3_S5_EELb1EEEvPS3_PS4_i, .Lfunc_end11-_ZN4vllm18act_and_mul_kernelIN3c108BFloat16ETnPFT_RKS3_EXadL_ZNS_16gelu_tanh_kernelIS2_EES3_S5_EELb1EEEvPS3_PS4_i
                                        ; -- End function
	.section	.AMDGPU.csdata,"",@progbits
; Kernel info:
; codeLenInByte = 704
; NumSgprs: 18
; NumVgprs: 11
; ScratchSize: 0
; MemoryBound: 0
; FloatMode: 240
; IeeeMode: 1
; LDSByteSize: 0 bytes/workgroup (compile time only)
; SGPRBlocks: 2
; VGPRBlocks: 1
; NumSGPRsForWavesPerEU: 18
; NumVGPRsForWavesPerEU: 11
; Occupancy: 16
; WaveLimiterHint : 0
; COMPUTE_PGM_RSRC2:SCRATCH_EN: 0
; COMPUTE_PGM_RSRC2:USER_SGPR: 15
; COMPUTE_PGM_RSRC2:TRAP_HANDLER: 0
; COMPUTE_PGM_RSRC2:TGID_X_EN: 1
; COMPUTE_PGM_RSRC2:TGID_Y_EN: 0
; COMPUTE_PGM_RSRC2:TGID_Z_EN: 0
; COMPUTE_PGM_RSRC2:TIDIG_COMP_CNT: 0
	.section	.text._ZN4vllm29act_and_mul_kernel_with_paramIfTnPFT_RKS1_fEXadL_ZNS_14fatrelu_kernelIfEES1_S3_fEEEEvPS1_PS2_if,"axG",@progbits,_ZN4vllm29act_and_mul_kernel_with_paramIfTnPFT_RKS1_fEXadL_ZNS_14fatrelu_kernelIfEES1_S3_fEEEEvPS1_PS2_if,comdat
	.protected	_ZN4vllm29act_and_mul_kernel_with_paramIfTnPFT_RKS1_fEXadL_ZNS_14fatrelu_kernelIfEES1_S3_fEEEEvPS1_PS2_if ; -- Begin function _ZN4vllm29act_and_mul_kernel_with_paramIfTnPFT_RKS1_fEXadL_ZNS_14fatrelu_kernelIfEES1_S3_fEEEEvPS1_PS2_if
	.globl	_ZN4vllm29act_and_mul_kernel_with_paramIfTnPFT_RKS1_fEXadL_ZNS_14fatrelu_kernelIfEES1_S3_fEEEEvPS1_PS2_if
	.p2align	8
	.type	_ZN4vllm29act_and_mul_kernel_with_paramIfTnPFT_RKS1_fEXadL_ZNS_14fatrelu_kernelIfEES1_S3_fEEEEvPS1_PS2_if,@function
_ZN4vllm29act_and_mul_kernel_with_paramIfTnPFT_RKS1_fEXadL_ZNS_14fatrelu_kernelIfEES1_S3_fEEEEvPS1_PS2_if: ; @_ZN4vllm29act_and_mul_kernel_with_paramIfTnPFT_RKS1_fEXadL_ZNS_14fatrelu_kernelIfEES1_S3_fEEEEvPS1_PS2_if
; %bb.0:
	s_load_b64 s[2:3], s[0:1], 0x10
	s_mov_b32 s4, exec_lo
	s_waitcnt lgkmcnt(0)
	v_cmpx_gt_i32_e64 s2, v0
	s_cbranch_execz .LBB12_3
; %bb.1:
	s_clause 0x1
	s_load_b128 s[8:11], s[0:1], 0x0
	s_load_b32 s0, s[0:1], 0x24
	s_ashr_i32 s5, s2, 31
	s_mul_hi_u32 s1, s15, s2
	s_mul_i32 s4, s15, s5
	s_mul_i32 s12, s15, s2
	s_add_i32 s13, s1, s4
	s_mov_b32 s4, s2
	s_lshl_b64 s[6:7], s[12:13], 3
	v_dual_mov_b32 v1, 0 :: v_dual_lshlrev_b32 v2, 2, v0
	s_delay_alu instid0(VALU_DEP_1) | instskip(SKIP_4) | instid1(SALU_CYCLE_1)
	v_mov_b32_e32 v3, v1
	s_waitcnt lgkmcnt(0)
	s_add_u32 s1, s10, s6
	s_addc_u32 s2, s11, s7
	s_lshl_b64 s[6:7], s[4:5], 2
	s_add_u32 s6, s1, s6
	s_addc_u32 s7, s2, s7
	s_lshl_b64 s[10:11], s[12:13], 2
	s_delay_alu instid0(SALU_CYCLE_1)
	s_add_u32 s8, s8, s10
	s_addc_u32 s9, s9, s11
	s_and_b32 s10, s0, 0xffff
	s_mov_b32 s11, 0
	s_lshl_b32 s12, s10, 2
	.p2align	6
.LBB12_2:                               ; =>This Inner Loop Header: Depth=1
	v_add_co_u32 v4, vcc_lo, s1, v2
	v_add_co_ci_u32_e32 v5, vcc_lo, s2, v3, vcc_lo
	v_add_co_u32 v6, vcc_lo, s6, v2
	v_add_co_ci_u32_e32 v7, vcc_lo, s7, v3, vcc_lo
	v_add_co_u32 v0, vcc_lo, v0, s10
	s_clause 0x1
	global_load_b32 v8, v[4:5], off
	global_load_b32 v6, v[6:7], off
	v_add_co_ci_u32_e32 v1, vcc_lo, 0, v1, vcc_lo
	v_add_co_u32 v4, vcc_lo, s8, v2
	v_add_co_ci_u32_e32 v5, vcc_lo, s9, v3, vcc_lo
	v_add_co_u32 v2, s0, v2, s12
	s_delay_alu instid0(VALU_DEP_1)
	v_add_co_ci_u32_e64 v3, s0, 0, v3, s0
	s_waitcnt vmcnt(1)
	v_cmp_lt_f32_e32 vcc_lo, s3, v8
	v_cndmask_b32_e32 v7, 0, v8, vcc_lo
	v_cmp_le_i64_e32 vcc_lo, s[4:5], v[0:1]
	s_waitcnt vmcnt(0)
	s_delay_alu instid0(VALU_DEP_2)
	v_mul_f32_e32 v6, v6, v7
	s_or_b32 s11, vcc_lo, s11
	global_store_b32 v[4:5], v6, off
	s_and_not1_b32 exec_lo, exec_lo, s11
	s_cbranch_execnz .LBB12_2
.LBB12_3:
	s_nop 0
	s_sendmsg sendmsg(MSG_DEALLOC_VGPRS)
	s_endpgm
	.section	.rodata,"a",@progbits
	.p2align	6, 0x0
	.amdhsa_kernel _ZN4vllm29act_and_mul_kernel_with_paramIfTnPFT_RKS1_fEXadL_ZNS_14fatrelu_kernelIfEES1_S3_fEEEEvPS1_PS2_if
		.amdhsa_group_segment_fixed_size 0
		.amdhsa_private_segment_fixed_size 0
		.amdhsa_kernarg_size 280
		.amdhsa_user_sgpr_count 15
		.amdhsa_user_sgpr_dispatch_ptr 0
		.amdhsa_user_sgpr_queue_ptr 0
		.amdhsa_user_sgpr_kernarg_segment_ptr 1
		.amdhsa_user_sgpr_dispatch_id 0
		.amdhsa_user_sgpr_private_segment_size 0
		.amdhsa_wavefront_size32 1
		.amdhsa_uses_dynamic_stack 0
		.amdhsa_enable_private_segment 0
		.amdhsa_system_sgpr_workgroup_id_x 1
		.amdhsa_system_sgpr_workgroup_id_y 0
		.amdhsa_system_sgpr_workgroup_id_z 0
		.amdhsa_system_sgpr_workgroup_info 0
		.amdhsa_system_vgpr_workitem_id 0
		.amdhsa_next_free_vgpr 9
		.amdhsa_next_free_sgpr 16
		.amdhsa_reserve_vcc 1
		.amdhsa_float_round_mode_32 0
		.amdhsa_float_round_mode_16_64 0
		.amdhsa_float_denorm_mode_32 3
		.amdhsa_float_denorm_mode_16_64 3
		.amdhsa_dx10_clamp 1
		.amdhsa_ieee_mode 1
		.amdhsa_fp16_overflow 0
		.amdhsa_workgroup_processor_mode 1
		.amdhsa_memory_ordered 1
		.amdhsa_forward_progress 0
		.amdhsa_shared_vgpr_count 0
		.amdhsa_exception_fp_ieee_invalid_op 0
		.amdhsa_exception_fp_denorm_src 0
		.amdhsa_exception_fp_ieee_div_zero 0
		.amdhsa_exception_fp_ieee_overflow 0
		.amdhsa_exception_fp_ieee_underflow 0
		.amdhsa_exception_fp_ieee_inexact 0
		.amdhsa_exception_int_div_zero 0
	.end_amdhsa_kernel
	.section	.text._ZN4vllm29act_and_mul_kernel_with_paramIfTnPFT_RKS1_fEXadL_ZNS_14fatrelu_kernelIfEES1_S3_fEEEEvPS1_PS2_if,"axG",@progbits,_ZN4vllm29act_and_mul_kernel_with_paramIfTnPFT_RKS1_fEXadL_ZNS_14fatrelu_kernelIfEES1_S3_fEEEEvPS1_PS2_if,comdat
.Lfunc_end12:
	.size	_ZN4vllm29act_and_mul_kernel_with_paramIfTnPFT_RKS1_fEXadL_ZNS_14fatrelu_kernelIfEES1_S3_fEEEEvPS1_PS2_if, .Lfunc_end12-_ZN4vllm29act_and_mul_kernel_with_paramIfTnPFT_RKS1_fEXadL_ZNS_14fatrelu_kernelIfEES1_S3_fEEEEvPS1_PS2_if
                                        ; -- End function
	.section	.AMDGPU.csdata,"",@progbits
; Kernel info:
; codeLenInByte = 296
; NumSgprs: 18
; NumVgprs: 9
; ScratchSize: 0
; MemoryBound: 0
; FloatMode: 240
; IeeeMode: 1
; LDSByteSize: 0 bytes/workgroup (compile time only)
; SGPRBlocks: 2
; VGPRBlocks: 1
; NumSGPRsForWavesPerEU: 18
; NumVGPRsForWavesPerEU: 9
; Occupancy: 16
; WaveLimiterHint : 0
; COMPUTE_PGM_RSRC2:SCRATCH_EN: 0
; COMPUTE_PGM_RSRC2:USER_SGPR: 15
; COMPUTE_PGM_RSRC2:TRAP_HANDLER: 0
; COMPUTE_PGM_RSRC2:TGID_X_EN: 1
; COMPUTE_PGM_RSRC2:TGID_Y_EN: 0
; COMPUTE_PGM_RSRC2:TGID_Z_EN: 0
; COMPUTE_PGM_RSRC2:TIDIG_COMP_CNT: 0
	.section	.text._ZN4vllm29act_and_mul_kernel_with_paramIN3c104HalfETnPFT_RKS3_fEXadL_ZNS_14fatrelu_kernelIS2_EES3_S5_fEEEEvPS3_PS4_if,"axG",@progbits,_ZN4vllm29act_and_mul_kernel_with_paramIN3c104HalfETnPFT_RKS3_fEXadL_ZNS_14fatrelu_kernelIS2_EES3_S5_fEEEEvPS3_PS4_if,comdat
	.protected	_ZN4vllm29act_and_mul_kernel_with_paramIN3c104HalfETnPFT_RKS3_fEXadL_ZNS_14fatrelu_kernelIS2_EES3_S5_fEEEEvPS3_PS4_if ; -- Begin function _ZN4vllm29act_and_mul_kernel_with_paramIN3c104HalfETnPFT_RKS3_fEXadL_ZNS_14fatrelu_kernelIS2_EES3_S5_fEEEEvPS3_PS4_if
	.globl	_ZN4vllm29act_and_mul_kernel_with_paramIN3c104HalfETnPFT_RKS3_fEXadL_ZNS_14fatrelu_kernelIS2_EES3_S5_fEEEEvPS3_PS4_if
	.p2align	8
	.type	_ZN4vllm29act_and_mul_kernel_with_paramIN3c104HalfETnPFT_RKS3_fEXadL_ZNS_14fatrelu_kernelIS2_EES3_S5_fEEEEvPS3_PS4_if,@function
_ZN4vllm29act_and_mul_kernel_with_paramIN3c104HalfETnPFT_RKS3_fEXadL_ZNS_14fatrelu_kernelIS2_EES3_S5_fEEEEvPS3_PS4_if: ; @_ZN4vllm29act_and_mul_kernel_with_paramIN3c104HalfETnPFT_RKS3_fEXadL_ZNS_14fatrelu_kernelIS2_EES3_S5_fEEEEvPS3_PS4_if
; %bb.0:
	s_load_b64 s[2:3], s[0:1], 0x10
	s_mov_b32 s4, exec_lo
	s_waitcnt lgkmcnt(0)
	v_cmpx_gt_i32_e64 s2, v0
	s_cbranch_execz .LBB13_12
; %bb.1:
	s_load_b32 s4, s[0:1], 0x24
	s_ashr_i32 s9, s2, 31
	s_mov_b32 s8, s2
	s_waitcnt lgkmcnt(0)
	s_and_b32 s10, s4, 0xffff
	s_delay_alu instid0(SALU_CYCLE_1) | instskip(NEXT) | instid1(VALU_DEP_1)
	v_add_co_u32 v1, s4, v0, s10
	v_add_co_ci_u32_e64 v2, null, 0, 0, s4
	s_load_b128 s[4:7], s[0:1], 0x0
	s_mov_b32 s0, exec_lo
	s_delay_alu instid0(VALU_DEP_1) | instskip(SKIP_1) | instid1(VALU_DEP_2)
	v_cmp_gt_i64_e64 s2, s[8:9], v[1:2]
	v_cmp_lt_i64_e32 vcc_lo, s[8:9], v[1:2]
	v_cndmask_b32_e64 v6, 0, 1, s2
	v_cndmask_b32_e32 v3, s9, v2, vcc_lo
	v_cndmask_b32_e32 v4, s8, v1, vcc_lo
	s_delay_alu instid0(VALU_DEP_3) | instskip(SKIP_2) | instid1(VALU_DEP_3)
	v_add_co_u32 v5, vcc_lo, v1, v6
	v_mov_b32_e32 v1, 0
	v_add_co_ci_u32_e32 v2, vcc_lo, 0, v2, vcc_lo
	v_sub_co_u32 v7, vcc_lo, v4, v5
                                        ; implicit-def: $vgpr4_vgpr5
	s_delay_alu instid0(VALU_DEP_2) | instskip(NEXT) | instid1(VALU_DEP_4)
	v_sub_co_ci_u32_e32 v3, vcc_lo, v3, v2, vcc_lo
	v_mov_b32_e32 v2, v1
	s_delay_alu instid0(VALU_DEP_1)
	v_cmpx_ne_u64_e32 0, v[2:3]
	s_xor_b32 s1, exec_lo, s0
	s_cbranch_execz .LBB13_3
; %bb.2:
	v_cvt_f32_u32_e32 v2, s10
	s_sub_u32 s0, 0, s10
	s_subb_u32 s2, 0, 0
	s_delay_alu instid0(VALU_DEP_1) | instskip(NEXT) | instid1(VALU_DEP_1)
	v_fmamk_f32 v2, 0, 0x4f800000, v2
	v_rcp_f32_e32 v2, v2
	s_waitcnt_depctr 0xfff
	v_mul_f32_e32 v2, 0x5f7ffffc, v2
	s_delay_alu instid0(VALU_DEP_1) | instskip(NEXT) | instid1(VALU_DEP_1)
	v_mul_f32_e32 v4, 0x2f800000, v2
	v_trunc_f32_e32 v4, v4
	s_delay_alu instid0(VALU_DEP_1) | instskip(SKIP_1) | instid1(VALU_DEP_2)
	v_fmamk_f32 v2, v4, 0xcf800000, v2
	v_cvt_u32_f32_e32 v4, v4
	v_cvt_u32_f32_e32 v2, v2
	s_delay_alu instid0(VALU_DEP_2) | instskip(NEXT) | instid1(VALU_DEP_2)
	v_mul_lo_u32 v5, s0, v4
	v_mul_hi_u32 v8, s0, v2
	v_mul_lo_u32 v9, s2, v2
	s_delay_alu instid0(VALU_DEP_2) | instskip(SKIP_1) | instid1(VALU_DEP_2)
	v_add_nc_u32_e32 v5, v8, v5
	v_mul_lo_u32 v8, s0, v2
	v_add_nc_u32_e32 v5, v5, v9
	s_delay_alu instid0(VALU_DEP_2) | instskip(NEXT) | instid1(VALU_DEP_2)
	v_mul_hi_u32 v9, v2, v8
	v_mul_lo_u32 v10, v2, v5
	v_mul_hi_u32 v11, v2, v5
	v_mul_hi_u32 v12, v4, v8
	v_mul_lo_u32 v8, v4, v8
	v_mul_hi_u32 v13, v4, v5
	v_mul_lo_u32 v5, v4, v5
	v_add_co_u32 v9, vcc_lo, v9, v10
	v_add_co_ci_u32_e32 v10, vcc_lo, 0, v11, vcc_lo
	s_delay_alu instid0(VALU_DEP_2) | instskip(NEXT) | instid1(VALU_DEP_2)
	v_add_co_u32 v8, vcc_lo, v9, v8
	v_add_co_ci_u32_e32 v8, vcc_lo, v10, v12, vcc_lo
	v_add_co_ci_u32_e32 v9, vcc_lo, 0, v13, vcc_lo
	s_delay_alu instid0(VALU_DEP_2) | instskip(NEXT) | instid1(VALU_DEP_2)
	v_add_co_u32 v5, vcc_lo, v8, v5
	v_add_co_ci_u32_e32 v8, vcc_lo, 0, v9, vcc_lo
	s_delay_alu instid0(VALU_DEP_2) | instskip(NEXT) | instid1(VALU_DEP_2)
	v_add_co_u32 v2, vcc_lo, v2, v5
	v_add_co_ci_u32_e32 v4, vcc_lo, v4, v8, vcc_lo
	s_delay_alu instid0(VALU_DEP_2) | instskip(SKIP_1) | instid1(VALU_DEP_3)
	v_mul_hi_u32 v5, s0, v2
	v_mul_lo_u32 v9, s2, v2
	v_mul_lo_u32 v8, s0, v4
	s_delay_alu instid0(VALU_DEP_1) | instskip(SKIP_1) | instid1(VALU_DEP_2)
	v_add_nc_u32_e32 v5, v5, v8
	v_mul_lo_u32 v8, s0, v2
	v_add_nc_u32_e32 v5, v5, v9
	s_delay_alu instid0(VALU_DEP_2) | instskip(NEXT) | instid1(VALU_DEP_2)
	v_mul_hi_u32 v9, v2, v8
	v_mul_lo_u32 v10, v2, v5
	v_mul_hi_u32 v11, v2, v5
	v_mul_hi_u32 v12, v4, v8
	v_mul_lo_u32 v8, v4, v8
	v_mul_hi_u32 v13, v4, v5
	v_mul_lo_u32 v5, v4, v5
	v_add_co_u32 v9, vcc_lo, v9, v10
	v_add_co_ci_u32_e32 v10, vcc_lo, 0, v11, vcc_lo
	s_delay_alu instid0(VALU_DEP_2) | instskip(NEXT) | instid1(VALU_DEP_2)
	v_add_co_u32 v8, vcc_lo, v9, v8
	v_add_co_ci_u32_e32 v8, vcc_lo, v10, v12, vcc_lo
	v_add_co_ci_u32_e32 v9, vcc_lo, 0, v13, vcc_lo
	s_delay_alu instid0(VALU_DEP_2) | instskip(NEXT) | instid1(VALU_DEP_2)
	v_add_co_u32 v5, vcc_lo, v8, v5
	v_add_co_ci_u32_e32 v8, vcc_lo, 0, v9, vcc_lo
	s_delay_alu instid0(VALU_DEP_2) | instskip(NEXT) | instid1(VALU_DEP_2)
	v_add_co_u32 v2, vcc_lo, v2, v5
	v_add_co_ci_u32_e32 v12, vcc_lo, v4, v8, vcc_lo
	s_delay_alu instid0(VALU_DEP_2) | instskip(SKIP_1) | instid1(VALU_DEP_3)
	v_mul_hi_u32 v13, v7, v2
	v_mad_u64_u32 v[8:9], null, v3, v2, 0
	v_mad_u64_u32 v[4:5], null, v7, v12, 0
	;; [unrolled: 1-line block ×3, first 2 shown]
	s_delay_alu instid0(VALU_DEP_2) | instskip(NEXT) | instid1(VALU_DEP_3)
	v_add_co_u32 v2, vcc_lo, v13, v4
	v_add_co_ci_u32_e32 v4, vcc_lo, 0, v5, vcc_lo
	s_delay_alu instid0(VALU_DEP_2) | instskip(NEXT) | instid1(VALU_DEP_2)
	v_add_co_u32 v2, vcc_lo, v2, v8
	v_add_co_ci_u32_e32 v2, vcc_lo, v4, v9, vcc_lo
	v_add_co_ci_u32_e32 v4, vcc_lo, 0, v11, vcc_lo
	s_delay_alu instid0(VALU_DEP_2) | instskip(NEXT) | instid1(VALU_DEP_2)
	v_add_co_u32 v10, vcc_lo, v2, v10
	v_add_co_ci_u32_e32 v11, vcc_lo, 0, v4, vcc_lo
	s_delay_alu instid0(VALU_DEP_2) | instskip(NEXT) | instid1(VALU_DEP_1)
	v_mad_u64_u32 v[4:5], null, s10, v10, 0
	v_mov_b32_e32 v2, v5
	s_delay_alu instid0(VALU_DEP_1) | instskip(NEXT) | instid1(VALU_DEP_3)
	v_mad_u64_u32 v[8:9], null, s10, v11, v[2:3]
	v_sub_co_u32 v2, vcc_lo, v7, v4
	s_delay_alu instid0(VALU_DEP_2) | instskip(NEXT) | instid1(VALU_DEP_2)
	v_sub_co_ci_u32_e32 v3, vcc_lo, v3, v8, vcc_lo
	v_sub_co_u32 v4, vcc_lo, v2, s10
	s_delay_alu instid0(VALU_DEP_2) | instskip(NEXT) | instid1(VALU_DEP_2)
	v_subrev_co_ci_u32_e32 v5, vcc_lo, 0, v3, vcc_lo
	v_cmp_le_u32_e32 vcc_lo, s10, v4
	v_cmp_eq_u32_e64 s0, 0, v3
	v_cndmask_b32_e64 v4, 0, -1, vcc_lo
	v_add_co_u32 v7, vcc_lo, v10, 2
	v_add_co_ci_u32_e32 v8, vcc_lo, 0, v11, vcc_lo
	v_cmp_le_u32_e32 vcc_lo, s10, v2
	v_cndmask_b32_e64 v2, 0, -1, vcc_lo
	v_cmp_eq_u32_e32 vcc_lo, 0, v5
	s_delay_alu instid0(VALU_DEP_2) | instskip(SKIP_3) | instid1(VALU_DEP_3)
	v_cndmask_b32_e64 v2, -1, v2, s0
	v_cndmask_b32_e32 v4, -1, v4, vcc_lo
	v_add_co_u32 v5, vcc_lo, v10, 1
	v_add_co_ci_u32_e32 v9, vcc_lo, 0, v11, vcc_lo
	v_cmp_ne_u32_e32 vcc_lo, 0, v4
	s_delay_alu instid0(VALU_DEP_2) | instskip(NEXT) | instid1(VALU_DEP_4)
	v_cndmask_b32_e32 v3, v9, v8, vcc_lo
	v_cndmask_b32_e32 v4, v5, v7, vcc_lo
	v_cmp_ne_u32_e32 vcc_lo, 0, v2
                                        ; implicit-def: $vgpr7
	s_delay_alu instid0(VALU_DEP_2)
	v_dual_cndmask_b32 v5, v11, v3 :: v_dual_cndmask_b32 v4, v10, v4
.LBB13_3:
	s_and_not1_saveexec_b32 s0, s1
	s_cbranch_execz .LBB13_5
; %bb.4:
	v_cvt_f32_u32_e32 v2, s10
	s_sub_i32 s1, 0, s10
	s_delay_alu instid0(VALU_DEP_1) | instskip(SKIP_2) | instid1(VALU_DEP_1)
	v_rcp_iflag_f32_e32 v2, v2
	s_waitcnt_depctr 0xfff
	v_mul_f32_e32 v2, 0x4f7ffffe, v2
	v_cvt_u32_f32_e32 v2, v2
	s_delay_alu instid0(VALU_DEP_1) | instskip(NEXT) | instid1(VALU_DEP_1)
	v_mul_lo_u32 v3, s1, v2
	v_mul_hi_u32 v3, v2, v3
	s_delay_alu instid0(VALU_DEP_1) | instskip(NEXT) | instid1(VALU_DEP_1)
	v_add_nc_u32_e32 v2, v2, v3
	v_mul_hi_u32 v2, v7, v2
	s_delay_alu instid0(VALU_DEP_1) | instskip(SKIP_1) | instid1(VALU_DEP_2)
	v_mul_lo_u32 v3, v2, s10
	v_add_nc_u32_e32 v4, 1, v2
	v_sub_nc_u32_e32 v3, v7, v3
	s_delay_alu instid0(VALU_DEP_1) | instskip(SKIP_1) | instid1(VALU_DEP_2)
	v_subrev_nc_u32_e32 v5, s10, v3
	v_cmp_le_u32_e32 vcc_lo, s10, v3
	v_cndmask_b32_e32 v3, v3, v5, vcc_lo
	v_dual_mov_b32 v5, 0 :: v_dual_cndmask_b32 v2, v2, v4
	s_delay_alu instid0(VALU_DEP_2) | instskip(NEXT) | instid1(VALU_DEP_2)
	v_cmp_le_u32_e32 vcc_lo, s10, v3
	v_add_nc_u32_e32 v4, 1, v2
	s_delay_alu instid0(VALU_DEP_1)
	v_cndmask_b32_e32 v4, v2, v4, vcc_lo
.LBB13_5:
	s_or_b32 exec_lo, exec_lo, s0
	s_delay_alu instid0(VALU_DEP_1) | instskip(SKIP_3) | instid1(VALU_DEP_2)
	v_add_co_u32 v2, vcc_lo, v4, v6
	v_add_co_ci_u32_e32 v3, vcc_lo, 0, v5, vcc_lo
	s_mul_i32 s0, s15, s9
	s_mul_hi_u32 s1, s15, s8
	v_add_co_u32 v2, vcc_lo, v2, 1
	s_mul_i32 s12, s15, s8
	s_add_i32 s13, s1, s0
	v_add_co_ci_u32_e32 v3, vcc_lo, 0, v3, vcc_lo
	s_lshl_b64 s[14:15], s[12:13], 2
	v_cmp_eq_u16_e64 s0, s10, 1
	s_waitcnt lgkmcnt(0)
	s_add_u32 s1, s6, s14
	s_addc_u32 s2, s7, s15
	s_lshl_b64 s[6:7], s[8:9], 1
	v_cmp_lt_u64_e32 vcc_lo, 1, v[2:3]
	s_add_u32 s6, s1, s6
	s_addc_u32 s7, s2, s7
	s_lshl_b64 s[12:13], s[12:13], 1
	s_delay_alu instid0(SALU_CYCLE_1)
	s_add_u32 s4, s4, s12
	s_addc_u32 s5, s5, s13
	s_and_b32 s12, vcc_lo, s0
	s_mov_b32 s0, -1
	s_and_saveexec_b32 s11, s12
	s_cbranch_execz .LBB13_9
; %bb.6:
	v_dual_mov_b32 v5, v3 :: v_dual_and_b32 v4, -2, v2
	v_dual_mov_b32 v9, 0 :: v_dual_lshlrev_b32 v8, 1, v0
	s_mov_b32 s13, s3
	s_mov_b32 s12, 0
	s_delay_alu instid0(VALU_DEP_2)
	v_dual_mov_b32 v7, v5 :: v_dual_mov_b32 v6, v4
	s_lshl_b32 s14, s10, 2
	s_set_inst_prefetch_distance 0x1
	.p2align	6
.LBB13_7:                               ; =>This Inner Loop Header: Depth=1
	v_add_co_u32 v10, vcc_lo, s1, v8
	v_add_co_ci_u32_e32 v11, vcc_lo, s2, v9, vcc_lo
	global_load_b32 v12, v[10:11], off
	v_add_co_u32 v10, vcc_lo, s6, v8
	v_add_co_ci_u32_e32 v11, vcc_lo, s7, v9, vcc_lo
	v_add_co_u32 v6, vcc_lo, v6, -2
	v_add_co_ci_u32_e32 v7, vcc_lo, -1, v7, vcc_lo
	global_load_b32 v13, v[10:11], off
	s_waitcnt vmcnt(1)
	v_lshrrev_b32_e32 v10, 16, v12
	v_cvt_f32_f16_e32 v11, v12
	s_delay_alu instid0(VALU_DEP_2) | instskip(NEXT) | instid1(VALU_DEP_2)
	v_cvt_f32_f16_e32 v14, v10
	v_cmp_lt_f32_e32 vcc_lo, s13, v11
	v_cndmask_b32_e32 v12, 0, v12, vcc_lo
	s_delay_alu instid0(VALU_DEP_3) | instskip(SKIP_3) | instid1(VALU_DEP_3)
	v_cmp_lt_f32_e32 vcc_lo, s3, v14
	v_cndmask_b32_e32 v14, 0, v10, vcc_lo
	v_add_co_u32 v10, vcc_lo, s4, v8
	v_add_co_ci_u32_e32 v11, vcc_lo, s5, v9, vcc_lo
	v_perm_b32 v12, v14, v12, 0x5040100
	v_cmp_eq_u64_e32 vcc_lo, 0, v[6:7]
	v_add_co_u32 v8, s0, v8, s14
	s_delay_alu instid0(VALU_DEP_1)
	v_add_co_ci_u32_e64 v9, s0, 0, v9, s0
	s_waitcnt vmcnt(0)
	v_pk_mul_f16 v12, v13, v12
	s_or_b32 s12, vcc_lo, s12
	global_store_b32 v[10:11], v12, off
	s_and_not1_b32 exec_lo, exec_lo, s12
	s_cbranch_execnz .LBB13_7
; %bb.8:
	s_set_inst_prefetch_distance 0x2
	s_or_b32 exec_lo, exec_lo, s12
	v_mad_u64_u32 v[6:7], null, v4, s10, v[0:1]
	v_cmp_ne_u64_e32 vcc_lo, v[2:3], v[4:5]
	s_or_not1_b32 s0, vcc_lo, exec_lo
	s_delay_alu instid0(VALU_DEP_2) | instskip(NEXT) | instid1(VALU_DEP_1)
	v_mov_b32_e32 v0, v7
	v_mad_u64_u32 v[7:8], null, v5, s10, v[0:1]
	s_delay_alu instid0(VALU_DEP_1)
	v_dual_mov_b32 v0, v6 :: v_dual_mov_b32 v1, v7
.LBB13_9:
	s_or_b32 exec_lo, exec_lo, s11
	s_delay_alu instid0(SALU_CYCLE_1)
	s_and_b32 exec_lo, exec_lo, s0
	s_cbranch_execz .LBB13_12
; %bb.10:
	s_delay_alu instid0(VALU_DEP_1)
	v_lshlrev_b64 v[2:3], 1, v[0:1]
	s_lshl_b32 s11, s10, 1
	s_mov_b32 s12, 0
	.p2align	6
.LBB13_11:                              ; =>This Inner Loop Header: Depth=1
	s_delay_alu instid0(VALU_DEP_1) | instskip(NEXT) | instid1(VALU_DEP_2)
	v_add_co_u32 v4, vcc_lo, s1, v2
	v_add_co_ci_u32_e32 v5, vcc_lo, s2, v3, vcc_lo
	global_load_u16 v6, v[4:5], off
	v_add_co_u32 v4, vcc_lo, s6, v2
	v_add_co_ci_u32_e32 v5, vcc_lo, s7, v3, vcc_lo
	v_add_co_u32 v0, vcc_lo, v0, s10
	v_add_co_ci_u32_e32 v1, vcc_lo, 0, v1, vcc_lo
	global_load_u16 v7, v[4:5], off
	v_add_co_u32 v4, vcc_lo, s4, v2
	v_add_co_ci_u32_e32 v5, vcc_lo, s5, v3, vcc_lo
	v_add_co_u32 v2, s0, v2, s11
	s_delay_alu instid0(VALU_DEP_1) | instskip(SKIP_2) | instid1(VALU_DEP_1)
	v_add_co_ci_u32_e64 v3, s0, 0, v3, s0
	s_waitcnt vmcnt(1)
	v_cvt_f32_f16_e32 v8, v6
	v_cmp_lt_f32_e32 vcc_lo, s3, v8
	v_cndmask_b32_e32 v6, 0, v6, vcc_lo
	v_cmp_le_i64_e32 vcc_lo, s[8:9], v[0:1]
	s_waitcnt vmcnt(0)
	s_delay_alu instid0(VALU_DEP_2)
	v_mul_f16_e32 v6, v7, v6
	s_or_b32 s12, vcc_lo, s12
	global_store_b16 v[4:5], v6, off
	s_and_not1_b32 exec_lo, exec_lo, s12
	s_cbranch_execnz .LBB13_11
.LBB13_12:
	s_nop 0
	s_sendmsg sendmsg(MSG_DEALLOC_VGPRS)
	s_endpgm
	.section	.rodata,"a",@progbits
	.p2align	6, 0x0
	.amdhsa_kernel _ZN4vllm29act_and_mul_kernel_with_paramIN3c104HalfETnPFT_RKS3_fEXadL_ZNS_14fatrelu_kernelIS2_EES3_S5_fEEEEvPS3_PS4_if
		.amdhsa_group_segment_fixed_size 0
		.amdhsa_private_segment_fixed_size 0
		.amdhsa_kernarg_size 280
		.amdhsa_user_sgpr_count 15
		.amdhsa_user_sgpr_dispatch_ptr 0
		.amdhsa_user_sgpr_queue_ptr 0
		.amdhsa_user_sgpr_kernarg_segment_ptr 1
		.amdhsa_user_sgpr_dispatch_id 0
		.amdhsa_user_sgpr_private_segment_size 0
		.amdhsa_wavefront_size32 1
		.amdhsa_uses_dynamic_stack 0
		.amdhsa_enable_private_segment 0
		.amdhsa_system_sgpr_workgroup_id_x 1
		.amdhsa_system_sgpr_workgroup_id_y 0
		.amdhsa_system_sgpr_workgroup_id_z 0
		.amdhsa_system_sgpr_workgroup_info 0
		.amdhsa_system_vgpr_workitem_id 0
		.amdhsa_next_free_vgpr 15
		.amdhsa_next_free_sgpr 16
		.amdhsa_reserve_vcc 1
		.amdhsa_float_round_mode_32 0
		.amdhsa_float_round_mode_16_64 0
		.amdhsa_float_denorm_mode_32 3
		.amdhsa_float_denorm_mode_16_64 3
		.amdhsa_dx10_clamp 1
		.amdhsa_ieee_mode 1
		.amdhsa_fp16_overflow 0
		.amdhsa_workgroup_processor_mode 1
		.amdhsa_memory_ordered 1
		.amdhsa_forward_progress 0
		.amdhsa_shared_vgpr_count 0
		.amdhsa_exception_fp_ieee_invalid_op 0
		.amdhsa_exception_fp_denorm_src 0
		.amdhsa_exception_fp_ieee_div_zero 0
		.amdhsa_exception_fp_ieee_overflow 0
		.amdhsa_exception_fp_ieee_underflow 0
		.amdhsa_exception_fp_ieee_inexact 0
		.amdhsa_exception_int_div_zero 0
	.end_amdhsa_kernel
	.section	.text._ZN4vllm29act_and_mul_kernel_with_paramIN3c104HalfETnPFT_RKS3_fEXadL_ZNS_14fatrelu_kernelIS2_EES3_S5_fEEEEvPS3_PS4_if,"axG",@progbits,_ZN4vllm29act_and_mul_kernel_with_paramIN3c104HalfETnPFT_RKS3_fEXadL_ZNS_14fatrelu_kernelIS2_EES3_S5_fEEEEvPS3_PS4_if,comdat
.Lfunc_end13:
	.size	_ZN4vllm29act_and_mul_kernel_with_paramIN3c104HalfETnPFT_RKS3_fEXadL_ZNS_14fatrelu_kernelIS2_EES3_S5_fEEEEvPS3_PS4_if, .Lfunc_end13-_ZN4vllm29act_and_mul_kernel_with_paramIN3c104HalfETnPFT_RKS3_fEXadL_ZNS_14fatrelu_kernelIS2_EES3_S5_fEEEEvPS3_PS4_if
                                        ; -- End function
	.section	.AMDGPU.csdata,"",@progbits
; Kernel info:
; codeLenInByte = 1568
; NumSgprs: 18
; NumVgprs: 15
; ScratchSize: 0
; MemoryBound: 0
; FloatMode: 240
; IeeeMode: 1
; LDSByteSize: 0 bytes/workgroup (compile time only)
; SGPRBlocks: 2
; VGPRBlocks: 1
; NumSGPRsForWavesPerEU: 18
; NumVGPRsForWavesPerEU: 15
; Occupancy: 16
; WaveLimiterHint : 0
; COMPUTE_PGM_RSRC2:SCRATCH_EN: 0
; COMPUTE_PGM_RSRC2:USER_SGPR: 15
; COMPUTE_PGM_RSRC2:TRAP_HANDLER: 0
; COMPUTE_PGM_RSRC2:TGID_X_EN: 1
; COMPUTE_PGM_RSRC2:TGID_Y_EN: 0
; COMPUTE_PGM_RSRC2:TGID_Z_EN: 0
; COMPUTE_PGM_RSRC2:TIDIG_COMP_CNT: 0
	.section	.text._ZN4vllm29act_and_mul_kernel_with_paramIN3c108BFloat16ETnPFT_RKS3_fEXadL_ZNS_14fatrelu_kernelIS2_EES3_S5_fEEEEvPS3_PS4_if,"axG",@progbits,_ZN4vllm29act_and_mul_kernel_with_paramIN3c108BFloat16ETnPFT_RKS3_fEXadL_ZNS_14fatrelu_kernelIS2_EES3_S5_fEEEEvPS3_PS4_if,comdat
	.protected	_ZN4vllm29act_and_mul_kernel_with_paramIN3c108BFloat16ETnPFT_RKS3_fEXadL_ZNS_14fatrelu_kernelIS2_EES3_S5_fEEEEvPS3_PS4_if ; -- Begin function _ZN4vllm29act_and_mul_kernel_with_paramIN3c108BFloat16ETnPFT_RKS3_fEXadL_ZNS_14fatrelu_kernelIS2_EES3_S5_fEEEEvPS3_PS4_if
	.globl	_ZN4vllm29act_and_mul_kernel_with_paramIN3c108BFloat16ETnPFT_RKS3_fEXadL_ZNS_14fatrelu_kernelIS2_EES3_S5_fEEEEvPS3_PS4_if
	.p2align	8
	.type	_ZN4vllm29act_and_mul_kernel_with_paramIN3c108BFloat16ETnPFT_RKS3_fEXadL_ZNS_14fatrelu_kernelIS2_EES3_S5_fEEEEvPS3_PS4_if,@function
_ZN4vllm29act_and_mul_kernel_with_paramIN3c108BFloat16ETnPFT_RKS3_fEXadL_ZNS_14fatrelu_kernelIS2_EES3_S5_fEEEEvPS3_PS4_if: ; @_ZN4vllm29act_and_mul_kernel_with_paramIN3c108BFloat16ETnPFT_RKS3_fEXadL_ZNS_14fatrelu_kernelIS2_EES3_S5_fEEEEvPS3_PS4_if
; %bb.0:
	s_load_b64 s[2:3], s[0:1], 0x10
	s_mov_b32 s4, exec_lo
	s_waitcnt lgkmcnt(0)
	v_cmpx_gt_i32_e64 s2, v0
	s_cbranch_execz .LBB14_12
; %bb.1:
	s_load_b32 s4, s[0:1], 0x24
	s_ashr_i32 s9, s2, 31
	s_mov_b32 s8, s2
	s_waitcnt lgkmcnt(0)
	s_and_b32 s10, s4, 0xffff
	s_delay_alu instid0(SALU_CYCLE_1) | instskip(NEXT) | instid1(VALU_DEP_1)
	v_add_co_u32 v1, s4, v0, s10
	v_add_co_ci_u32_e64 v2, null, 0, 0, s4
	s_load_b128 s[4:7], s[0:1], 0x0
	s_mov_b32 s0, exec_lo
	s_delay_alu instid0(VALU_DEP_1) | instskip(SKIP_1) | instid1(VALU_DEP_2)
	v_cmp_gt_i64_e64 s2, s[8:9], v[1:2]
	v_cmp_lt_i64_e32 vcc_lo, s[8:9], v[1:2]
	v_cndmask_b32_e64 v6, 0, 1, s2
	v_cndmask_b32_e32 v3, s9, v2, vcc_lo
	v_cndmask_b32_e32 v4, s8, v1, vcc_lo
	s_delay_alu instid0(VALU_DEP_3) | instskip(SKIP_2) | instid1(VALU_DEP_3)
	v_add_co_u32 v5, vcc_lo, v1, v6
	v_mov_b32_e32 v1, 0
	v_add_co_ci_u32_e32 v2, vcc_lo, 0, v2, vcc_lo
	v_sub_co_u32 v7, vcc_lo, v4, v5
                                        ; implicit-def: $vgpr4_vgpr5
	s_delay_alu instid0(VALU_DEP_2) | instskip(NEXT) | instid1(VALU_DEP_4)
	v_sub_co_ci_u32_e32 v3, vcc_lo, v3, v2, vcc_lo
	v_mov_b32_e32 v2, v1
	s_delay_alu instid0(VALU_DEP_1)
	v_cmpx_ne_u64_e32 0, v[2:3]
	s_xor_b32 s1, exec_lo, s0
	s_cbranch_execz .LBB14_3
; %bb.2:
	v_cvt_f32_u32_e32 v2, s10
	s_sub_u32 s0, 0, s10
	s_subb_u32 s2, 0, 0
	s_delay_alu instid0(VALU_DEP_1) | instskip(NEXT) | instid1(VALU_DEP_1)
	v_fmamk_f32 v2, 0, 0x4f800000, v2
	v_rcp_f32_e32 v2, v2
	s_waitcnt_depctr 0xfff
	v_mul_f32_e32 v2, 0x5f7ffffc, v2
	s_delay_alu instid0(VALU_DEP_1) | instskip(NEXT) | instid1(VALU_DEP_1)
	v_mul_f32_e32 v4, 0x2f800000, v2
	v_trunc_f32_e32 v4, v4
	s_delay_alu instid0(VALU_DEP_1) | instskip(SKIP_1) | instid1(VALU_DEP_2)
	v_fmamk_f32 v2, v4, 0xcf800000, v2
	v_cvt_u32_f32_e32 v4, v4
	v_cvt_u32_f32_e32 v2, v2
	s_delay_alu instid0(VALU_DEP_2) | instskip(NEXT) | instid1(VALU_DEP_2)
	v_mul_lo_u32 v5, s0, v4
	v_mul_hi_u32 v8, s0, v2
	v_mul_lo_u32 v9, s2, v2
	s_delay_alu instid0(VALU_DEP_2) | instskip(SKIP_1) | instid1(VALU_DEP_2)
	v_add_nc_u32_e32 v5, v8, v5
	v_mul_lo_u32 v8, s0, v2
	v_add_nc_u32_e32 v5, v5, v9
	s_delay_alu instid0(VALU_DEP_2) | instskip(NEXT) | instid1(VALU_DEP_2)
	v_mul_hi_u32 v9, v2, v8
	v_mul_lo_u32 v10, v2, v5
	v_mul_hi_u32 v11, v2, v5
	v_mul_hi_u32 v12, v4, v8
	v_mul_lo_u32 v8, v4, v8
	v_mul_hi_u32 v13, v4, v5
	v_mul_lo_u32 v5, v4, v5
	v_add_co_u32 v9, vcc_lo, v9, v10
	v_add_co_ci_u32_e32 v10, vcc_lo, 0, v11, vcc_lo
	s_delay_alu instid0(VALU_DEP_2) | instskip(NEXT) | instid1(VALU_DEP_2)
	v_add_co_u32 v8, vcc_lo, v9, v8
	v_add_co_ci_u32_e32 v8, vcc_lo, v10, v12, vcc_lo
	v_add_co_ci_u32_e32 v9, vcc_lo, 0, v13, vcc_lo
	s_delay_alu instid0(VALU_DEP_2) | instskip(NEXT) | instid1(VALU_DEP_2)
	v_add_co_u32 v5, vcc_lo, v8, v5
	v_add_co_ci_u32_e32 v8, vcc_lo, 0, v9, vcc_lo
	s_delay_alu instid0(VALU_DEP_2) | instskip(NEXT) | instid1(VALU_DEP_2)
	v_add_co_u32 v2, vcc_lo, v2, v5
	v_add_co_ci_u32_e32 v4, vcc_lo, v4, v8, vcc_lo
	s_delay_alu instid0(VALU_DEP_2) | instskip(SKIP_1) | instid1(VALU_DEP_3)
	v_mul_hi_u32 v5, s0, v2
	v_mul_lo_u32 v9, s2, v2
	v_mul_lo_u32 v8, s0, v4
	s_delay_alu instid0(VALU_DEP_1) | instskip(SKIP_1) | instid1(VALU_DEP_2)
	v_add_nc_u32_e32 v5, v5, v8
	v_mul_lo_u32 v8, s0, v2
	v_add_nc_u32_e32 v5, v5, v9
	s_delay_alu instid0(VALU_DEP_2) | instskip(NEXT) | instid1(VALU_DEP_2)
	v_mul_hi_u32 v9, v2, v8
	v_mul_lo_u32 v10, v2, v5
	v_mul_hi_u32 v11, v2, v5
	v_mul_hi_u32 v12, v4, v8
	v_mul_lo_u32 v8, v4, v8
	v_mul_hi_u32 v13, v4, v5
	v_mul_lo_u32 v5, v4, v5
	v_add_co_u32 v9, vcc_lo, v9, v10
	v_add_co_ci_u32_e32 v10, vcc_lo, 0, v11, vcc_lo
	s_delay_alu instid0(VALU_DEP_2) | instskip(NEXT) | instid1(VALU_DEP_2)
	v_add_co_u32 v8, vcc_lo, v9, v8
	v_add_co_ci_u32_e32 v8, vcc_lo, v10, v12, vcc_lo
	v_add_co_ci_u32_e32 v9, vcc_lo, 0, v13, vcc_lo
	s_delay_alu instid0(VALU_DEP_2) | instskip(NEXT) | instid1(VALU_DEP_2)
	v_add_co_u32 v5, vcc_lo, v8, v5
	v_add_co_ci_u32_e32 v8, vcc_lo, 0, v9, vcc_lo
	s_delay_alu instid0(VALU_DEP_2) | instskip(NEXT) | instid1(VALU_DEP_2)
	v_add_co_u32 v2, vcc_lo, v2, v5
	v_add_co_ci_u32_e32 v12, vcc_lo, v4, v8, vcc_lo
	s_delay_alu instid0(VALU_DEP_2) | instskip(SKIP_1) | instid1(VALU_DEP_3)
	v_mul_hi_u32 v13, v7, v2
	v_mad_u64_u32 v[8:9], null, v3, v2, 0
	v_mad_u64_u32 v[4:5], null, v7, v12, 0
	;; [unrolled: 1-line block ×3, first 2 shown]
	s_delay_alu instid0(VALU_DEP_2) | instskip(NEXT) | instid1(VALU_DEP_3)
	v_add_co_u32 v2, vcc_lo, v13, v4
	v_add_co_ci_u32_e32 v4, vcc_lo, 0, v5, vcc_lo
	s_delay_alu instid0(VALU_DEP_2) | instskip(NEXT) | instid1(VALU_DEP_2)
	v_add_co_u32 v2, vcc_lo, v2, v8
	v_add_co_ci_u32_e32 v2, vcc_lo, v4, v9, vcc_lo
	v_add_co_ci_u32_e32 v4, vcc_lo, 0, v11, vcc_lo
	s_delay_alu instid0(VALU_DEP_2) | instskip(NEXT) | instid1(VALU_DEP_2)
	v_add_co_u32 v10, vcc_lo, v2, v10
	v_add_co_ci_u32_e32 v11, vcc_lo, 0, v4, vcc_lo
	s_delay_alu instid0(VALU_DEP_2) | instskip(NEXT) | instid1(VALU_DEP_1)
	v_mad_u64_u32 v[4:5], null, s10, v10, 0
	v_mov_b32_e32 v2, v5
	s_delay_alu instid0(VALU_DEP_1) | instskip(NEXT) | instid1(VALU_DEP_3)
	v_mad_u64_u32 v[8:9], null, s10, v11, v[2:3]
	v_sub_co_u32 v2, vcc_lo, v7, v4
	s_delay_alu instid0(VALU_DEP_2) | instskip(NEXT) | instid1(VALU_DEP_2)
	v_sub_co_ci_u32_e32 v3, vcc_lo, v3, v8, vcc_lo
	v_sub_co_u32 v4, vcc_lo, v2, s10
	s_delay_alu instid0(VALU_DEP_2) | instskip(NEXT) | instid1(VALU_DEP_2)
	v_subrev_co_ci_u32_e32 v5, vcc_lo, 0, v3, vcc_lo
	v_cmp_le_u32_e32 vcc_lo, s10, v4
	v_cmp_eq_u32_e64 s0, 0, v3
	v_cndmask_b32_e64 v4, 0, -1, vcc_lo
	v_add_co_u32 v7, vcc_lo, v10, 2
	v_add_co_ci_u32_e32 v8, vcc_lo, 0, v11, vcc_lo
	v_cmp_le_u32_e32 vcc_lo, s10, v2
	v_cndmask_b32_e64 v2, 0, -1, vcc_lo
	v_cmp_eq_u32_e32 vcc_lo, 0, v5
	s_delay_alu instid0(VALU_DEP_2) | instskip(SKIP_3) | instid1(VALU_DEP_3)
	v_cndmask_b32_e64 v2, -1, v2, s0
	v_cndmask_b32_e32 v4, -1, v4, vcc_lo
	v_add_co_u32 v5, vcc_lo, v10, 1
	v_add_co_ci_u32_e32 v9, vcc_lo, 0, v11, vcc_lo
	v_cmp_ne_u32_e32 vcc_lo, 0, v4
	s_delay_alu instid0(VALU_DEP_2) | instskip(NEXT) | instid1(VALU_DEP_4)
	v_cndmask_b32_e32 v3, v9, v8, vcc_lo
	v_cndmask_b32_e32 v4, v5, v7, vcc_lo
	v_cmp_ne_u32_e32 vcc_lo, 0, v2
                                        ; implicit-def: $vgpr7
	s_delay_alu instid0(VALU_DEP_2)
	v_dual_cndmask_b32 v5, v11, v3 :: v_dual_cndmask_b32 v4, v10, v4
.LBB14_3:
	s_and_not1_saveexec_b32 s0, s1
	s_cbranch_execz .LBB14_5
; %bb.4:
	v_cvt_f32_u32_e32 v2, s10
	s_sub_i32 s1, 0, s10
	s_delay_alu instid0(VALU_DEP_1) | instskip(SKIP_2) | instid1(VALU_DEP_1)
	v_rcp_iflag_f32_e32 v2, v2
	s_waitcnt_depctr 0xfff
	v_mul_f32_e32 v2, 0x4f7ffffe, v2
	v_cvt_u32_f32_e32 v2, v2
	s_delay_alu instid0(VALU_DEP_1) | instskip(NEXT) | instid1(VALU_DEP_1)
	v_mul_lo_u32 v3, s1, v2
	v_mul_hi_u32 v3, v2, v3
	s_delay_alu instid0(VALU_DEP_1) | instskip(NEXT) | instid1(VALU_DEP_1)
	v_add_nc_u32_e32 v2, v2, v3
	v_mul_hi_u32 v2, v7, v2
	s_delay_alu instid0(VALU_DEP_1) | instskip(SKIP_1) | instid1(VALU_DEP_2)
	v_mul_lo_u32 v3, v2, s10
	v_add_nc_u32_e32 v4, 1, v2
	v_sub_nc_u32_e32 v3, v7, v3
	s_delay_alu instid0(VALU_DEP_1) | instskip(SKIP_1) | instid1(VALU_DEP_2)
	v_subrev_nc_u32_e32 v5, s10, v3
	v_cmp_le_u32_e32 vcc_lo, s10, v3
	v_cndmask_b32_e32 v3, v3, v5, vcc_lo
	v_dual_mov_b32 v5, 0 :: v_dual_cndmask_b32 v2, v2, v4
	s_delay_alu instid0(VALU_DEP_2) | instskip(NEXT) | instid1(VALU_DEP_2)
	v_cmp_le_u32_e32 vcc_lo, s10, v3
	v_add_nc_u32_e32 v4, 1, v2
	s_delay_alu instid0(VALU_DEP_1)
	v_cndmask_b32_e32 v4, v2, v4, vcc_lo
.LBB14_5:
	s_or_b32 exec_lo, exec_lo, s0
	s_delay_alu instid0(VALU_DEP_1) | instskip(SKIP_3) | instid1(VALU_DEP_2)
	v_add_co_u32 v2, vcc_lo, v4, v6
	v_add_co_ci_u32_e32 v3, vcc_lo, 0, v5, vcc_lo
	s_mul_i32 s1, s15, s9
	s_mul_hi_u32 s2, s15, s8
	v_add_co_u32 v2, vcc_lo, v2, 1
	s_mul_i32 s0, s15, s8
	s_add_i32 s1, s2, s1
	v_add_co_ci_u32_e32 v3, vcc_lo, 0, v3, vcc_lo
	s_lshl_b64 s[12:13], s[0:1], 2
	s_waitcnt lgkmcnt(0)
	s_add_u32 s2, s6, s12
	s_addc_u32 s6, s7, s13
	s_lshl_b64 s[12:13], s[8:9], 1
	v_cmp_lt_u64_e32 vcc_lo, 1, v[2:3]
	s_add_u32 s7, s2, s12
	v_cmp_eq_u16_e64 s12, s10, 1
	s_addc_u32 s11, s6, s13
	s_lshl_b64 s[0:1], s[0:1], 1
	s_delay_alu instid0(SALU_CYCLE_1)
	s_add_u32 s4, s4, s0
	s_addc_u32 s5, s5, s1
	s_and_b32 s12, vcc_lo, s12
	s_mov_b32 s0, -1
	s_and_saveexec_b32 s1, s12
	s_cbranch_execz .LBB14_9
; %bb.6:
	v_dual_mov_b32 v5, v3 :: v_dual_and_b32 v4, -2, v2
	v_dual_mov_b32 v9, 0 :: v_dual_lshlrev_b32 v8, 1, v0
	s_mov_b32 s13, s3
	s_mov_b32 s12, 0
	s_delay_alu instid0(VALU_DEP_2)
	v_dual_mov_b32 v7, v5 :: v_dual_mov_b32 v6, v4
	s_lshl_b32 s14, s10, 2
.LBB14_7:                               ; =>This Inner Loop Header: Depth=1
	v_add_co_u32 v10, vcc_lo, s2, v8
	v_add_co_ci_u32_e32 v11, vcc_lo, s6, v9, vcc_lo
	global_load_b32 v12, v[10:11], off
	v_add_co_u32 v10, vcc_lo, s7, v8
	v_add_co_ci_u32_e32 v11, vcc_lo, s11, v9, vcc_lo
	global_load_b32 v10, v[10:11], off
	s_waitcnt vmcnt(1)
	v_and_b32_e32 v11, 0xffff0000, v12
	s_delay_alu instid0(VALU_DEP_1)
	v_cmp_lt_f32_e32 vcc_lo, s3, v11
	v_lshlrev_b32_e32 v12, 16, v12
	s_waitcnt vmcnt(0)
	v_lshlrev_b32_e32 v16, 16, v10
	v_and_b32_e32 v15, 0xffff0000, v10
	v_cndmask_b32_e32 v11, 0, v11, vcc_lo
	v_cmp_lt_f32_e32 vcc_lo, s13, v12
	s_delay_alu instid0(VALU_DEP_2) | instskip(SKIP_1) | instid1(VALU_DEP_2)
	v_lshrrev_b32_e32 v13, 16, v11
	v_cmp_o_f32_e64 s0, v11, v11
	v_and_or_b32 v13, v13, 1, v11
	s_delay_alu instid0(VALU_DEP_1) | instskip(NEXT) | instid1(VALU_DEP_1)
	v_dual_cndmask_b32 v12, 0, v12 :: v_dual_add_nc_u32 v13, 0x7fff, v13
	v_lshrrev_b32_e32 v14, 16, v12
	v_cmp_o_f32_e32 vcc_lo, v12, v12
	s_delay_alu instid0(VALU_DEP_3) | instskip(NEXT) | instid1(VALU_DEP_3)
	v_and_b32_e32 v10, 0xffff0000, v13
	v_and_or_b32 v14, v14, 1, v12
	s_delay_alu instid0(VALU_DEP_2) | instskip(NEXT) | instid1(VALU_DEP_2)
	v_cndmask_b32_e64 v11, 0x7fc00000, v10, s0
	v_add_nc_u32_e32 v14, 0x7fff, v14
	s_delay_alu instid0(VALU_DEP_1) | instskip(NEXT) | instid1(VALU_DEP_1)
	v_and_b32_e32 v13, 0xffff0000, v14
	v_cndmask_b32_e32 v12, 0x7fc00000, v13, vcc_lo
	v_add_co_u32 v10, vcc_lo, s4, v8
	s_delay_alu instid0(VALU_DEP_2) | instskip(SKIP_2) | instid1(VALU_DEP_3)
	v_dual_mul_f32 v12, v12, v16 :: v_dual_mul_f32 v13, v11, v15
	v_add_co_ci_u32_e32 v11, vcc_lo, s5, v9, vcc_lo
	v_add_co_u32 v6, vcc_lo, v6, -2
	v_bfe_u32 v14, v13, 16, 1
	s_delay_alu instid0(VALU_DEP_4) | instskip(SKIP_2) | instid1(VALU_DEP_4)
	v_bfe_u32 v15, v12, 16, 1
	v_add_co_ci_u32_e32 v7, vcc_lo, -1, v7, vcc_lo
	v_cmp_o_f32_e32 vcc_lo, v12, v12
	v_add3_u32 v14, v13, v14, 0x7fff
	s_delay_alu instid0(VALU_DEP_4) | instskip(SKIP_1) | instid1(VALU_DEP_3)
	v_add3_u32 v15, v12, v15, 0x7fff
	v_cmp_o_f32_e64 s0, v13, v13
	v_lshrrev_b32_e32 v14, 16, v14
	s_delay_alu instid0(VALU_DEP_3) | instskip(NEXT) | instid1(VALU_DEP_2)
	v_lshrrev_b32_e32 v15, 16, v15
	v_cndmask_b32_e64 v12, 0x7fc0, v14, s0
	s_delay_alu instid0(VALU_DEP_2) | instskip(SKIP_2) | instid1(VALU_DEP_1)
	v_cndmask_b32_e32 v13, 0x7fc0, v15, vcc_lo
	v_cmp_eq_u64_e32 vcc_lo, 0, v[6:7]
	v_add_co_u32 v8, s0, v8, s14
	v_add_co_ci_u32_e64 v9, s0, 0, v9, s0
	s_delay_alu instid0(VALU_DEP_4)
	v_perm_b32 v12, v12, v13, 0x5040100
	s_or_b32 s12, vcc_lo, s12
	global_store_b32 v[10:11], v12, off
	s_and_not1_b32 exec_lo, exec_lo, s12
	s_cbranch_execnz .LBB14_7
; %bb.8:
	s_or_b32 exec_lo, exec_lo, s12
	v_mad_u64_u32 v[6:7], null, v4, s10, v[0:1]
	v_cmp_ne_u64_e32 vcc_lo, v[2:3], v[4:5]
	s_or_not1_b32 s0, vcc_lo, exec_lo
	s_delay_alu instid0(VALU_DEP_2) | instskip(NEXT) | instid1(VALU_DEP_1)
	v_mov_b32_e32 v0, v7
	v_mad_u64_u32 v[7:8], null, v5, s10, v[0:1]
	s_delay_alu instid0(VALU_DEP_1)
	v_dual_mov_b32 v0, v6 :: v_dual_mov_b32 v1, v7
.LBB14_9:
	s_or_b32 exec_lo, exec_lo, s1
	s_delay_alu instid0(SALU_CYCLE_1)
	s_and_b32 exec_lo, exec_lo, s0
	s_cbranch_execz .LBB14_12
; %bb.10:
	s_delay_alu instid0(VALU_DEP_1)
	v_lshlrev_b64 v[2:3], 1, v[0:1]
	s_lshl_b32 s12, s10, 1
	s_mov_b32 s13, 0
.LBB14_11:                              ; =>This Inner Loop Header: Depth=1
	s_delay_alu instid0(VALU_DEP_1) | instskip(NEXT) | instid1(VALU_DEP_2)
	v_add_co_u32 v4, vcc_lo, s2, v2
	v_add_co_ci_u32_e32 v5, vcc_lo, s6, v3, vcc_lo
	global_load_u16 v6, v[4:5], off
	v_add_co_u32 v4, vcc_lo, s7, v2
	v_add_co_ci_u32_e32 v5, vcc_lo, s11, v3, vcc_lo
	global_load_u16 v4, v[4:5], off
	s_waitcnt vmcnt(1)
	v_lshlrev_b32_e32 v5, 16, v6
	s_delay_alu instid0(VALU_DEP_1) | instskip(SKIP_1) | instid1(VALU_DEP_1)
	v_cmp_lt_f32_e32 vcc_lo, s3, v5
	v_cndmask_b32_e32 v5, 0, v5, vcc_lo
	v_lshrrev_b32_e32 v6, 16, v5
	s_delay_alu instid0(VALU_DEP_1) | instskip(NEXT) | instid1(VALU_DEP_1)
	v_and_or_b32 v6, v6, 1, v5
	v_add_nc_u32_e32 v6, 0x7fff, v6
	v_cmp_o_f32_e32 vcc_lo, v5, v5
	s_delay_alu instid0(VALU_DEP_2) | instskip(SKIP_1) | instid1(VALU_DEP_1)
	v_and_b32_e32 v6, 0xffff0000, v6
	s_waitcnt vmcnt(0)
	v_dual_cndmask_b32 v5, 0x7fc00000, v6 :: v_dual_lshlrev_b32 v4, 16, v4
	v_add_co_u32 v0, vcc_lo, v0, s10
	v_add_co_ci_u32_e32 v1, vcc_lo, 0, v1, vcc_lo
	s_delay_alu instid0(VALU_DEP_3) | instskip(NEXT) | instid1(VALU_DEP_2)
	v_mul_f32_e32 v6, v5, v4
	v_cmp_le_i64_e64 s0, s[8:9], v[0:1]
	s_delay_alu instid0(VALU_DEP_2) | instskip(SKIP_1) | instid1(VALU_DEP_3)
	v_bfe_u32 v4, v6, 16, 1
	v_cmp_o_f32_e64 s1, v6, v6
	s_or_b32 s13, s0, s13
	s_delay_alu instid0(VALU_DEP_2) | instskip(SKIP_2) | instid1(VALU_DEP_3)
	v_add3_u32 v7, v6, v4, 0x7fff
	v_add_co_u32 v4, vcc_lo, s4, v2
	v_add_co_ci_u32_e32 v5, vcc_lo, s5, v3, vcc_lo
	v_lshrrev_b32_e32 v7, 16, v7
	v_add_co_u32 v2, vcc_lo, v2, s12
	v_add_co_ci_u32_e32 v3, vcc_lo, 0, v3, vcc_lo
	s_delay_alu instid0(VALU_DEP_3)
	v_cndmask_b32_e64 v6, 0x7fc0, v7, s1
	global_store_b16 v[4:5], v6, off
	s_and_not1_b32 exec_lo, exec_lo, s13
	s_cbranch_execnz .LBB14_11
.LBB14_12:
	s_nop 0
	s_sendmsg sendmsg(MSG_DEALLOC_VGPRS)
	s_endpgm
	.section	.rodata,"a",@progbits
	.p2align	6, 0x0
	.amdhsa_kernel _ZN4vllm29act_and_mul_kernel_with_paramIN3c108BFloat16ETnPFT_RKS3_fEXadL_ZNS_14fatrelu_kernelIS2_EES3_S5_fEEEEvPS3_PS4_if
		.amdhsa_group_segment_fixed_size 0
		.amdhsa_private_segment_fixed_size 0
		.amdhsa_kernarg_size 280
		.amdhsa_user_sgpr_count 15
		.amdhsa_user_sgpr_dispatch_ptr 0
		.amdhsa_user_sgpr_queue_ptr 0
		.amdhsa_user_sgpr_kernarg_segment_ptr 1
		.amdhsa_user_sgpr_dispatch_id 0
		.amdhsa_user_sgpr_private_segment_size 0
		.amdhsa_wavefront_size32 1
		.amdhsa_uses_dynamic_stack 0
		.amdhsa_enable_private_segment 0
		.amdhsa_system_sgpr_workgroup_id_x 1
		.amdhsa_system_sgpr_workgroup_id_y 0
		.amdhsa_system_sgpr_workgroup_id_z 0
		.amdhsa_system_sgpr_workgroup_info 0
		.amdhsa_system_vgpr_workitem_id 0
		.amdhsa_next_free_vgpr 17
		.amdhsa_next_free_sgpr 16
		.amdhsa_reserve_vcc 1
		.amdhsa_float_round_mode_32 0
		.amdhsa_float_round_mode_16_64 0
		.amdhsa_float_denorm_mode_32 3
		.amdhsa_float_denorm_mode_16_64 3
		.amdhsa_dx10_clamp 1
		.amdhsa_ieee_mode 1
		.amdhsa_fp16_overflow 0
		.amdhsa_workgroup_processor_mode 1
		.amdhsa_memory_ordered 1
		.amdhsa_forward_progress 0
		.amdhsa_shared_vgpr_count 0
		.amdhsa_exception_fp_ieee_invalid_op 0
		.amdhsa_exception_fp_denorm_src 0
		.amdhsa_exception_fp_ieee_div_zero 0
		.amdhsa_exception_fp_ieee_overflow 0
		.amdhsa_exception_fp_ieee_underflow 0
		.amdhsa_exception_fp_ieee_inexact 0
		.amdhsa_exception_int_div_zero 0
	.end_amdhsa_kernel
	.section	.text._ZN4vllm29act_and_mul_kernel_with_paramIN3c108BFloat16ETnPFT_RKS3_fEXadL_ZNS_14fatrelu_kernelIS2_EES3_S5_fEEEEvPS3_PS4_if,"axG",@progbits,_ZN4vllm29act_and_mul_kernel_with_paramIN3c108BFloat16ETnPFT_RKS3_fEXadL_ZNS_14fatrelu_kernelIS2_EES3_S5_fEEEEvPS3_PS4_if,comdat
.Lfunc_end14:
	.size	_ZN4vllm29act_and_mul_kernel_with_paramIN3c108BFloat16ETnPFT_RKS3_fEXadL_ZNS_14fatrelu_kernelIS2_EES3_S5_fEEEEvPS3_PS4_if, .Lfunc_end14-_ZN4vllm29act_and_mul_kernel_with_paramIN3c108BFloat16ETnPFT_RKS3_fEXadL_ZNS_14fatrelu_kernelIS2_EES3_S5_fEEEEvPS3_PS4_if
                                        ; -- End function
	.section	.AMDGPU.csdata,"",@progbits
; Kernel info:
; codeLenInByte = 1884
; NumSgprs: 18
; NumVgprs: 17
; ScratchSize: 0
; MemoryBound: 0
; FloatMode: 240
; IeeeMode: 1
; LDSByteSize: 0 bytes/workgroup (compile time only)
; SGPRBlocks: 2
; VGPRBlocks: 2
; NumSGPRsForWavesPerEU: 18
; NumVGPRsForWavesPerEU: 17
; Occupancy: 16
; WaveLimiterHint : 0
; COMPUTE_PGM_RSRC2:SCRATCH_EN: 0
; COMPUTE_PGM_RSRC2:USER_SGPR: 15
; COMPUTE_PGM_RSRC2:TRAP_HANDLER: 0
; COMPUTE_PGM_RSRC2:TGID_X_EN: 1
; COMPUTE_PGM_RSRC2:TGID_Y_EN: 0
; COMPUTE_PGM_RSRC2:TGID_Z_EN: 0
; COMPUTE_PGM_RSRC2:TIDIG_COMP_CNT: 0
	.section	.text._ZN4vllm24swigluoai_and_mul_kernelIfTnPFT_RKS1_S3_ffEXadL_ZNS_17swigluoai_and_mulIfEES1_S3_S3_ffEEEEvPS1_PS2_iff,"axG",@progbits,_ZN4vllm24swigluoai_and_mul_kernelIfTnPFT_RKS1_S3_ffEXadL_ZNS_17swigluoai_and_mulIfEES1_S3_S3_ffEEEEvPS1_PS2_iff,comdat
	.protected	_ZN4vllm24swigluoai_and_mul_kernelIfTnPFT_RKS1_S3_ffEXadL_ZNS_17swigluoai_and_mulIfEES1_S3_S3_ffEEEEvPS1_PS2_iff ; -- Begin function _ZN4vllm24swigluoai_and_mul_kernelIfTnPFT_RKS1_S3_ffEXadL_ZNS_17swigluoai_and_mulIfEES1_S3_S3_ffEEEEvPS1_PS2_iff
	.globl	_ZN4vllm24swigluoai_and_mul_kernelIfTnPFT_RKS1_S3_ffEXadL_ZNS_17swigluoai_and_mulIfEES1_S3_S3_ffEEEEvPS1_PS2_iff
	.p2align	8
	.type	_ZN4vllm24swigluoai_and_mul_kernelIfTnPFT_RKS1_S3_ffEXadL_ZNS_17swigluoai_and_mulIfEES1_S3_S3_ffEEEEvPS1_PS2_iff,@function
_ZN4vllm24swigluoai_and_mul_kernelIfTnPFT_RKS1_S3_ffEXadL_ZNS_17swigluoai_and_mulIfEES1_S3_S3_ffEEEEvPS1_PS2_iff: ; @_ZN4vllm24swigluoai_and_mul_kernelIfTnPFT_RKS1_S3_ffEXadL_ZNS_17swigluoai_and_mulIfEES1_S3_S3_ffEEEEvPS1_PS2_iff
; %bb.0:
	s_load_b128 s[4:7], s[0:1], 0x10
	s_mov_b32 s2, exec_lo
	s_waitcnt lgkmcnt(0)
	v_cmpx_gt_i32_e64 s4, v0
	s_cbranch_execz .LBB15_3
; %bb.1:
	s_clause 0x1
	s_load_b32 s2, s[0:1], 0x2c
	s_load_b128 s[16:19], s[0:1], 0x0
	s_ashr_i32 s3, s4, 31
	s_mul_hi_u32 s1, s15, s4
	s_mul_i32 s7, s15, s3
	s_mul_i32 s0, s15, s4
	s_add_i32 s1, s1, s7
	v_add_co_u32 v1, s7, s0, v0
	s_delay_alu instid0(VALU_DEP_1) | instskip(SKIP_2) | instid1(VALU_DEP_2)
	v_add_co_ci_u32_e64 v2, null, s1, 0, s7
	s_lshl_b64 s[0:1], s[0:1], 2
	v_lshlrev_b32_e32 v4, 2, v0
	v_lshlrev_b64 v[2:3], 3, v[1:2]
	v_mov_b32_e32 v1, 0
	s_waitcnt lgkmcnt(0)
	s_and_b32 s7, s2, 0xffff
	s_delay_alu instid0(VALU_DEP_2) | instskip(NEXT) | instid1(VALU_DEP_3)
	v_add_co_u32 v2, vcc_lo, v2, s18
	v_add_co_ci_u32_e32 v3, vcc_lo, s19, v3, vcc_lo
	s_lshl_b32 s8, s7, 3
	s_add_u32 s0, s16, s0
	s_delay_alu instid0(VALU_DEP_2)
	v_add_co_u32 v2, vcc_lo, v2, 4
	s_addc_u32 s1, s17, s1
	v_add_co_u32 v4, s0, s0, v4
	v_add_co_ci_u32_e32 v3, vcc_lo, 0, v3, vcc_lo
	v_add_co_ci_u32_e64 v5, null, s1, 0, s0
	s_mov_b32 s2, s4
	s_mov_b32 s4, 0
	s_lshl_b32 s9, s7, 2
.LBB15_2:                               ; =>This Inner Loop Header: Depth=1
	global_load_b64 v[6:7], v[2:3], off offset:-4
	v_add_co_u32 v0, vcc_lo, v0, s7
	v_add_co_ci_u32_e32 v1, vcc_lo, 0, v1, vcc_lo
	v_add_co_u32 v2, vcc_lo, v2, s8
	v_add_co_ci_u32_e32 v3, vcc_lo, 0, v3, vcc_lo
	s_delay_alu instid0(VALU_DEP_3) | instskip(NEXT) | instid1(VALU_DEP_1)
	v_cmp_le_i64_e64 s0, s[2:3], v[0:1]
	s_or_b32 s4, s0, s4
	s_waitcnt vmcnt(0)
	v_cmp_lt_f32_e32 vcc_lo, s6, v6
	v_cmp_lt_f32_e64 s1, v7, -s6
	v_cndmask_b32_e64 v6, v6, s6, vcc_lo
	s_delay_alu instid0(VALU_DEP_2) | instskip(SKIP_1) | instid1(VALU_DEP_3)
	v_cndmask_b32_e64 v8, v7, -s6, s1
	v_cmp_lt_f32_e32 vcc_lo, s6, v7
	v_mul_f32_e64 v7, -v6, s5
	s_delay_alu instid0(VALU_DEP_3) | instskip(NEXT) | instid1(VALU_DEP_2)
	v_cndmask_b32_e64 v8, v8, s6, vcc_lo
	v_mul_f32_e32 v9, 0x3fb8aa3b, v7
	v_cmp_ngt_f32_e64 s1, 0xc2ce8ed0, v7
	s_delay_alu instid0(VALU_DEP_3) | instskip(NEXT) | instid1(VALU_DEP_3)
	v_add_f32_e32 v8, 1.0, v8
	v_fma_f32 v10, 0x3fb8aa3b, v7, -v9
	v_rndne_f32_e32 v11, v9
	s_delay_alu instid0(VALU_DEP_2) | instskip(NEXT) | instid1(VALU_DEP_2)
	v_fmac_f32_e32 v10, 0x32a5705f, v7
	v_sub_f32_e32 v9, v9, v11
	s_delay_alu instid0(VALU_DEP_1) | instskip(SKIP_1) | instid1(VALU_DEP_2)
	v_add_f32_e32 v9, v9, v10
	v_cvt_i32_f32_e32 v10, v11
	v_exp_f32_e32 v9, v9
	s_waitcnt_depctr 0xfff
	v_ldexp_f32 v9, v9, v10
	s_delay_alu instid0(VALU_DEP_1) | instskip(SKIP_1) | instid1(VALU_DEP_1)
	v_cndmask_b32_e64 v9, 0, v9, s1
	v_cmp_nlt_f32_e64 s1, 0x42b17218, v7
	v_cndmask_b32_e64 v7, 0x7f800000, v9, s1
	s_delay_alu instid0(VALU_DEP_1) | instskip(NEXT) | instid1(VALU_DEP_1)
	v_add_f32_e32 v7, 1.0, v7
	v_div_scale_f32 v9, null, v7, v7, 1.0
	v_div_scale_f32 v11, vcc_lo, 1.0, v7, 1.0
	s_delay_alu instid0(VALU_DEP_2) | instskip(SKIP_2) | instid1(VALU_DEP_1)
	v_rcp_f32_e32 v10, v9
	s_waitcnt_depctr 0xfff
	v_fma_f32 v12, -v9, v10, 1.0
	v_fmac_f32_e32 v10, v12, v10
	s_delay_alu instid0(VALU_DEP_1) | instskip(NEXT) | instid1(VALU_DEP_1)
	v_mul_f32_e32 v12, v11, v10
	v_fma_f32 v13, -v9, v12, v11
	s_delay_alu instid0(VALU_DEP_1) | instskip(NEXT) | instid1(VALU_DEP_1)
	v_fmac_f32_e32 v12, v13, v10
	v_fma_f32 v9, -v9, v12, v11
	s_delay_alu instid0(VALU_DEP_1) | instskip(NEXT) | instid1(VALU_DEP_1)
	v_div_fmas_f32 v9, v9, v10, v12
	v_div_fixup_f32 v7, v9, v7, 1.0
	s_delay_alu instid0(VALU_DEP_1) | instskip(NEXT) | instid1(VALU_DEP_1)
	v_mul_f32_e32 v6, v6, v7
	v_mul_f32_e32 v6, v8, v6
	global_store_b32 v[4:5], v6, off
	v_add_co_u32 v4, vcc_lo, v4, s9
	v_add_co_ci_u32_e32 v5, vcc_lo, 0, v5, vcc_lo
	s_and_not1_b32 exec_lo, exec_lo, s4
	s_cbranch_execnz .LBB15_2
.LBB15_3:
	s_nop 0
	s_sendmsg sendmsg(MSG_DEALLOC_VGPRS)
	s_endpgm
	.section	.rodata,"a",@progbits
	.p2align	6, 0x0
	.amdhsa_kernel _ZN4vllm24swigluoai_and_mul_kernelIfTnPFT_RKS1_S3_ffEXadL_ZNS_17swigluoai_and_mulIfEES1_S3_S3_ffEEEEvPS1_PS2_iff
		.amdhsa_group_segment_fixed_size 0
		.amdhsa_private_segment_fixed_size 0
		.amdhsa_kernarg_size 288
		.amdhsa_user_sgpr_count 15
		.amdhsa_user_sgpr_dispatch_ptr 0
		.amdhsa_user_sgpr_queue_ptr 0
		.amdhsa_user_sgpr_kernarg_segment_ptr 1
		.amdhsa_user_sgpr_dispatch_id 0
		.amdhsa_user_sgpr_private_segment_size 0
		.amdhsa_wavefront_size32 1
		.amdhsa_uses_dynamic_stack 0
		.amdhsa_enable_private_segment 0
		.amdhsa_system_sgpr_workgroup_id_x 1
		.amdhsa_system_sgpr_workgroup_id_y 0
		.amdhsa_system_sgpr_workgroup_id_z 0
		.amdhsa_system_sgpr_workgroup_info 0
		.amdhsa_system_vgpr_workitem_id 0
		.amdhsa_next_free_vgpr 14
		.amdhsa_next_free_sgpr 20
		.amdhsa_reserve_vcc 1
		.amdhsa_float_round_mode_32 0
		.amdhsa_float_round_mode_16_64 0
		.amdhsa_float_denorm_mode_32 3
		.amdhsa_float_denorm_mode_16_64 3
		.amdhsa_dx10_clamp 1
		.amdhsa_ieee_mode 1
		.amdhsa_fp16_overflow 0
		.amdhsa_workgroup_processor_mode 1
		.amdhsa_memory_ordered 1
		.amdhsa_forward_progress 0
		.amdhsa_shared_vgpr_count 0
		.amdhsa_exception_fp_ieee_invalid_op 0
		.amdhsa_exception_fp_denorm_src 0
		.amdhsa_exception_fp_ieee_div_zero 0
		.amdhsa_exception_fp_ieee_overflow 0
		.amdhsa_exception_fp_ieee_underflow 0
		.amdhsa_exception_fp_ieee_inexact 0
		.amdhsa_exception_int_div_zero 0
	.end_amdhsa_kernel
	.section	.text._ZN4vllm24swigluoai_and_mul_kernelIfTnPFT_RKS1_S3_ffEXadL_ZNS_17swigluoai_and_mulIfEES1_S3_S3_ffEEEEvPS1_PS2_iff,"axG",@progbits,_ZN4vllm24swigluoai_and_mul_kernelIfTnPFT_RKS1_S3_ffEXadL_ZNS_17swigluoai_and_mulIfEES1_S3_S3_ffEEEEvPS1_PS2_iff,comdat
.Lfunc_end15:
	.size	_ZN4vllm24swigluoai_and_mul_kernelIfTnPFT_RKS1_S3_ffEXadL_ZNS_17swigluoai_and_mulIfEES1_S3_S3_ffEEEEvPS1_PS2_iff, .Lfunc_end15-_ZN4vllm24swigluoai_and_mul_kernelIfTnPFT_RKS1_S3_ffEXadL_ZNS_17swigluoai_and_mulIfEES1_S3_S3_ffEEEEvPS1_PS2_iff
                                        ; -- End function
	.section	.AMDGPU.csdata,"",@progbits
; Kernel info:
; codeLenInByte = 576
; NumSgprs: 22
; NumVgprs: 14
; ScratchSize: 0
; MemoryBound: 0
; FloatMode: 240
; IeeeMode: 1
; LDSByteSize: 0 bytes/workgroup (compile time only)
; SGPRBlocks: 2
; VGPRBlocks: 1
; NumSGPRsForWavesPerEU: 22
; NumVGPRsForWavesPerEU: 14
; Occupancy: 16
; WaveLimiterHint : 0
; COMPUTE_PGM_RSRC2:SCRATCH_EN: 0
; COMPUTE_PGM_RSRC2:USER_SGPR: 15
; COMPUTE_PGM_RSRC2:TRAP_HANDLER: 0
; COMPUTE_PGM_RSRC2:TGID_X_EN: 1
; COMPUTE_PGM_RSRC2:TGID_Y_EN: 0
; COMPUTE_PGM_RSRC2:TGID_Z_EN: 0
; COMPUTE_PGM_RSRC2:TIDIG_COMP_CNT: 0
	.section	.text._ZN4vllm24swigluoai_and_mul_kernelIN3c104HalfETnPFT_RKS3_S5_ffEXadL_ZNS_17swigluoai_and_mulIS2_EES3_S5_S5_ffEEEEvPS3_PS4_iff,"axG",@progbits,_ZN4vllm24swigluoai_and_mul_kernelIN3c104HalfETnPFT_RKS3_S5_ffEXadL_ZNS_17swigluoai_and_mulIS2_EES3_S5_S5_ffEEEEvPS3_PS4_iff,comdat
	.protected	_ZN4vllm24swigluoai_and_mul_kernelIN3c104HalfETnPFT_RKS3_S5_ffEXadL_ZNS_17swigluoai_and_mulIS2_EES3_S5_S5_ffEEEEvPS3_PS4_iff ; -- Begin function _ZN4vllm24swigluoai_and_mul_kernelIN3c104HalfETnPFT_RKS3_S5_ffEXadL_ZNS_17swigluoai_and_mulIS2_EES3_S5_S5_ffEEEEvPS3_PS4_iff
	.globl	_ZN4vllm24swigluoai_and_mul_kernelIN3c104HalfETnPFT_RKS3_S5_ffEXadL_ZNS_17swigluoai_and_mulIS2_EES3_S5_S5_ffEEEEvPS3_PS4_iff
	.p2align	8
	.type	_ZN4vllm24swigluoai_and_mul_kernelIN3c104HalfETnPFT_RKS3_S5_ffEXadL_ZNS_17swigluoai_and_mulIS2_EES3_S5_S5_ffEEEEvPS3_PS4_iff,@function
_ZN4vllm24swigluoai_and_mul_kernelIN3c104HalfETnPFT_RKS3_S5_ffEXadL_ZNS_17swigluoai_and_mulIS2_EES3_S5_S5_ffEEEEvPS3_PS4_iff: ; @_ZN4vllm24swigluoai_and_mul_kernelIN3c104HalfETnPFT_RKS3_S5_ffEXadL_ZNS_17swigluoai_and_mulIS2_EES3_S5_S5_ffEEEEvPS3_PS4_iff
; %bb.0:
	s_load_b128 s[4:7], s[0:1], 0x10
	s_mov_b32 s2, exec_lo
	s_waitcnt lgkmcnt(0)
	v_cmpx_gt_i32_e64 s4, v0
	s_cbranch_execz .LBB16_14
; %bb.1:
	s_load_b32 s2, s[0:1], 0x2c
	s_mov_b32 s12, s4
	s_ashr_i32 s13, s4, 31
	s_waitcnt lgkmcnt(0)
	s_and_b32 s7, s2, 0xffff
	s_delay_alu instid0(SALU_CYCLE_1) | instskip(NEXT) | instid1(VALU_DEP_1)
	v_add_co_u32 v1, s2, v0, s7
	v_add_co_ci_u32_e64 v2, null, 0, 0, s2
	s_delay_alu instid0(VALU_DEP_1) | instskip(SKIP_1) | instid1(VALU_DEP_2)
	v_cmp_gt_i64_e64 s2, s[12:13], v[1:2]
	v_cmp_lt_i64_e32 vcc_lo, s[12:13], v[1:2]
	v_cndmask_b32_e64 v6, 0, 1, s2
	v_cndmask_b32_e32 v3, s13, v2, vcc_lo
	v_cndmask_b32_e32 v4, s4, v1, vcc_lo
	s_mov_b32 s2, exec_lo
	s_delay_alu instid0(VALU_DEP_3) | instskip(SKIP_2) | instid1(VALU_DEP_3)
	v_add_co_u32 v5, vcc_lo, v1, v6
	v_mov_b32_e32 v1, 0
	v_add_co_ci_u32_e32 v2, vcc_lo, 0, v2, vcc_lo
	v_sub_co_u32 v7, vcc_lo, v4, v5
                                        ; implicit-def: $vgpr4_vgpr5
	s_delay_alu instid0(VALU_DEP_2) | instskip(NEXT) | instid1(VALU_DEP_4)
	v_sub_co_ci_u32_e32 v3, vcc_lo, v3, v2, vcc_lo
	v_mov_b32_e32 v2, v1
	s_delay_alu instid0(VALU_DEP_1)
	v_cmpx_ne_u64_e32 0, v[2:3]
	s_xor_b32 s3, exec_lo, s2
	s_cbranch_execz .LBB16_3
; %bb.2:
	v_cvt_f32_u32_e32 v2, s7
	s_sub_u32 s2, 0, s7
	s_subb_u32 s4, 0, 0
	s_delay_alu instid0(VALU_DEP_1) | instskip(NEXT) | instid1(VALU_DEP_1)
	v_fmamk_f32 v2, 0, 0x4f800000, v2
	v_rcp_f32_e32 v2, v2
	s_waitcnt_depctr 0xfff
	v_mul_f32_e32 v2, 0x5f7ffffc, v2
	s_delay_alu instid0(VALU_DEP_1) | instskip(NEXT) | instid1(VALU_DEP_1)
	v_mul_f32_e32 v4, 0x2f800000, v2
	v_trunc_f32_e32 v4, v4
	s_delay_alu instid0(VALU_DEP_1) | instskip(SKIP_1) | instid1(VALU_DEP_2)
	v_fmamk_f32 v2, v4, 0xcf800000, v2
	v_cvt_u32_f32_e32 v4, v4
	v_cvt_u32_f32_e32 v2, v2
	s_delay_alu instid0(VALU_DEP_2) | instskip(NEXT) | instid1(VALU_DEP_2)
	v_mul_lo_u32 v5, s2, v4
	v_mul_hi_u32 v8, s2, v2
	v_mul_lo_u32 v9, s4, v2
	s_delay_alu instid0(VALU_DEP_2) | instskip(SKIP_1) | instid1(VALU_DEP_2)
	v_add_nc_u32_e32 v5, v8, v5
	v_mul_lo_u32 v8, s2, v2
	v_add_nc_u32_e32 v5, v5, v9
	s_delay_alu instid0(VALU_DEP_2) | instskip(NEXT) | instid1(VALU_DEP_2)
	v_mul_hi_u32 v9, v2, v8
	v_mul_lo_u32 v10, v2, v5
	v_mul_hi_u32 v11, v2, v5
	v_mul_hi_u32 v12, v4, v8
	v_mul_lo_u32 v8, v4, v8
	v_mul_hi_u32 v13, v4, v5
	v_mul_lo_u32 v5, v4, v5
	v_add_co_u32 v9, vcc_lo, v9, v10
	v_add_co_ci_u32_e32 v10, vcc_lo, 0, v11, vcc_lo
	s_delay_alu instid0(VALU_DEP_2) | instskip(NEXT) | instid1(VALU_DEP_2)
	v_add_co_u32 v8, vcc_lo, v9, v8
	v_add_co_ci_u32_e32 v8, vcc_lo, v10, v12, vcc_lo
	v_add_co_ci_u32_e32 v9, vcc_lo, 0, v13, vcc_lo
	s_delay_alu instid0(VALU_DEP_2) | instskip(NEXT) | instid1(VALU_DEP_2)
	v_add_co_u32 v5, vcc_lo, v8, v5
	v_add_co_ci_u32_e32 v8, vcc_lo, 0, v9, vcc_lo
	s_delay_alu instid0(VALU_DEP_2) | instskip(NEXT) | instid1(VALU_DEP_2)
	v_add_co_u32 v2, vcc_lo, v2, v5
	v_add_co_ci_u32_e32 v4, vcc_lo, v4, v8, vcc_lo
	s_delay_alu instid0(VALU_DEP_2) | instskip(SKIP_1) | instid1(VALU_DEP_3)
	v_mul_hi_u32 v5, s2, v2
	v_mul_lo_u32 v9, s4, v2
	v_mul_lo_u32 v8, s2, v4
	s_delay_alu instid0(VALU_DEP_1) | instskip(SKIP_1) | instid1(VALU_DEP_2)
	v_add_nc_u32_e32 v5, v5, v8
	v_mul_lo_u32 v8, s2, v2
	v_add_nc_u32_e32 v5, v5, v9
	s_delay_alu instid0(VALU_DEP_2) | instskip(NEXT) | instid1(VALU_DEP_2)
	v_mul_hi_u32 v9, v2, v8
	v_mul_lo_u32 v10, v2, v5
	v_mul_hi_u32 v11, v2, v5
	v_mul_hi_u32 v12, v4, v8
	v_mul_lo_u32 v8, v4, v8
	v_mul_hi_u32 v13, v4, v5
	v_mul_lo_u32 v5, v4, v5
	v_add_co_u32 v9, vcc_lo, v9, v10
	v_add_co_ci_u32_e32 v10, vcc_lo, 0, v11, vcc_lo
	s_delay_alu instid0(VALU_DEP_2) | instskip(NEXT) | instid1(VALU_DEP_2)
	v_add_co_u32 v8, vcc_lo, v9, v8
	v_add_co_ci_u32_e32 v8, vcc_lo, v10, v12, vcc_lo
	v_add_co_ci_u32_e32 v9, vcc_lo, 0, v13, vcc_lo
	s_delay_alu instid0(VALU_DEP_2) | instskip(NEXT) | instid1(VALU_DEP_2)
	v_add_co_u32 v5, vcc_lo, v8, v5
	v_add_co_ci_u32_e32 v8, vcc_lo, 0, v9, vcc_lo
	s_delay_alu instid0(VALU_DEP_2) | instskip(NEXT) | instid1(VALU_DEP_2)
	v_add_co_u32 v2, vcc_lo, v2, v5
	v_add_co_ci_u32_e32 v12, vcc_lo, v4, v8, vcc_lo
	s_delay_alu instid0(VALU_DEP_2) | instskip(SKIP_1) | instid1(VALU_DEP_3)
	v_mul_hi_u32 v13, v7, v2
	v_mad_u64_u32 v[8:9], null, v3, v2, 0
	v_mad_u64_u32 v[4:5], null, v7, v12, 0
	;; [unrolled: 1-line block ×3, first 2 shown]
	s_delay_alu instid0(VALU_DEP_2) | instskip(NEXT) | instid1(VALU_DEP_3)
	v_add_co_u32 v2, vcc_lo, v13, v4
	v_add_co_ci_u32_e32 v4, vcc_lo, 0, v5, vcc_lo
	s_delay_alu instid0(VALU_DEP_2) | instskip(NEXT) | instid1(VALU_DEP_2)
	v_add_co_u32 v2, vcc_lo, v2, v8
	v_add_co_ci_u32_e32 v2, vcc_lo, v4, v9, vcc_lo
	v_add_co_ci_u32_e32 v4, vcc_lo, 0, v11, vcc_lo
	s_delay_alu instid0(VALU_DEP_2) | instskip(NEXT) | instid1(VALU_DEP_2)
	v_add_co_u32 v10, vcc_lo, v2, v10
	v_add_co_ci_u32_e32 v11, vcc_lo, 0, v4, vcc_lo
	s_delay_alu instid0(VALU_DEP_2) | instskip(NEXT) | instid1(VALU_DEP_1)
	v_mad_u64_u32 v[4:5], null, s7, v10, 0
	v_mov_b32_e32 v2, v5
	s_delay_alu instid0(VALU_DEP_1) | instskip(NEXT) | instid1(VALU_DEP_3)
	v_mad_u64_u32 v[8:9], null, s7, v11, v[2:3]
	v_sub_co_u32 v2, vcc_lo, v7, v4
	s_delay_alu instid0(VALU_DEP_2) | instskip(NEXT) | instid1(VALU_DEP_2)
	v_sub_co_ci_u32_e32 v3, vcc_lo, v3, v8, vcc_lo
	v_sub_co_u32 v4, vcc_lo, v2, s7
	s_delay_alu instid0(VALU_DEP_2) | instskip(NEXT) | instid1(VALU_DEP_2)
	v_subrev_co_ci_u32_e32 v5, vcc_lo, 0, v3, vcc_lo
	v_cmp_le_u32_e32 vcc_lo, s7, v4
	v_cmp_eq_u32_e64 s2, 0, v3
	v_cndmask_b32_e64 v4, 0, -1, vcc_lo
	v_add_co_u32 v7, vcc_lo, v10, 2
	v_add_co_ci_u32_e32 v8, vcc_lo, 0, v11, vcc_lo
	v_cmp_le_u32_e32 vcc_lo, s7, v2
	v_cndmask_b32_e64 v2, 0, -1, vcc_lo
	v_cmp_eq_u32_e32 vcc_lo, 0, v5
	s_delay_alu instid0(VALU_DEP_2) | instskip(SKIP_3) | instid1(VALU_DEP_3)
	v_cndmask_b32_e64 v2, -1, v2, s2
	v_cndmask_b32_e32 v4, -1, v4, vcc_lo
	v_add_co_u32 v5, vcc_lo, v10, 1
	v_add_co_ci_u32_e32 v9, vcc_lo, 0, v11, vcc_lo
	v_cmp_ne_u32_e32 vcc_lo, 0, v4
	s_delay_alu instid0(VALU_DEP_2) | instskip(NEXT) | instid1(VALU_DEP_4)
	v_cndmask_b32_e32 v3, v9, v8, vcc_lo
	v_cndmask_b32_e32 v4, v5, v7, vcc_lo
	v_cmp_ne_u32_e32 vcc_lo, 0, v2
                                        ; kill: def $vgpr2 killed $sgpr0 killed $exec
                                        ; implicit-def: $vgpr7
	s_delay_alu instid0(VALU_DEP_2)
	v_dual_cndmask_b32 v5, v11, v3 :: v_dual_cndmask_b32 v4, v10, v4
.LBB16_3:
	s_and_not1_saveexec_b32 s2, s3
	s_cbranch_execz .LBB16_5
; %bb.4:
	v_cvt_f32_u32_e32 v2, s7
	s_sub_i32 s3, 0, s7
	s_delay_alu instid0(VALU_DEP_1) | instskip(SKIP_2) | instid1(VALU_DEP_1)
	v_rcp_iflag_f32_e32 v2, v2
	s_waitcnt_depctr 0xfff
	v_mul_f32_e32 v2, 0x4f7ffffe, v2
	v_cvt_u32_f32_e32 v2, v2
	s_delay_alu instid0(VALU_DEP_1) | instskip(NEXT) | instid1(VALU_DEP_1)
	v_mul_lo_u32 v3, s3, v2
	v_mul_hi_u32 v3, v2, v3
	s_delay_alu instid0(VALU_DEP_1) | instskip(NEXT) | instid1(VALU_DEP_1)
	v_add_nc_u32_e32 v2, v2, v3
	v_mul_hi_u32 v2, v7, v2
	s_delay_alu instid0(VALU_DEP_1) | instskip(SKIP_1) | instid1(VALU_DEP_2)
	v_mul_lo_u32 v3, v2, s7
	v_add_nc_u32_e32 v4, 1, v2
	v_sub_nc_u32_e32 v3, v7, v3
	s_delay_alu instid0(VALU_DEP_1) | instskip(SKIP_1) | instid1(VALU_DEP_2)
	v_subrev_nc_u32_e32 v5, s7, v3
	v_cmp_le_u32_e32 vcc_lo, s7, v3
	v_cndmask_b32_e32 v3, v3, v5, vcc_lo
	v_dual_mov_b32 v5, 0 :: v_dual_cndmask_b32 v2, v2, v4
	s_delay_alu instid0(VALU_DEP_2) | instskip(NEXT) | instid1(VALU_DEP_2)
	v_cmp_le_u32_e32 vcc_lo, s7, v3
	v_add_nc_u32_e32 v4, 1, v2
	s_delay_alu instid0(VALU_DEP_1)
	v_cndmask_b32_e32 v4, v2, v4, vcc_lo
.LBB16_5:
	s_or_b32 exec_lo, exec_lo, s2
	s_load_b128 s[8:11], s[0:1], 0x0
	s_delay_alu instid0(VALU_DEP_1) | instskip(SKIP_2) | instid1(VALU_DEP_3)
	v_add_co_u32 v2, vcc_lo, v4, v6
	v_add_co_ci_u32_e32 v3, vcc_lo, 0, v5, vcc_lo
	v_cmp_ne_u16_e64 s4, s7, 1
	v_add_co_u32 v6, vcc_lo, v2, 1
	s_delay_alu instid0(VALU_DEP_3) | instskip(SKIP_3) | instid1(VALU_DEP_1)
	v_add_co_ci_u32_e32 v7, vcc_lo, 0, v3, vcc_lo
	s_mul_i32 s0, s15, s13
	s_mul_hi_u32 s1, s15, s12
	s_mul_i32 s2, s15, s12
	v_cmp_gt_u64_e32 vcc_lo, 2, v[6:7]
	v_mov_b32_e32 v9, v7
	s_add_i32 s3, s1, s0
                                        ; kill: def $vgpr2_vgpr3 killed $sgpr0_sgpr1 killed $exec
                                        ; implicit-def: $sgpr0_sgpr1
	s_or_b32 s14, vcc_lo, s4
	s_mov_b32 s4, 0
	s_and_saveexec_b32 s15, s14
	s_delay_alu instid0(SALU_CYCLE_1)
	s_xor_b32 s14, exec_lo, s15
; %bb.6:
	s_mov_b32 s4, exec_lo
	s_lshl_b32 s0, s7, 2
	s_mov_b32 s1, 0
                                        ; implicit-def: $vgpr6_vgpr7
                                        ; implicit-def: $vgpr9
; %bb.7:
	s_or_saveexec_b32 s16, s14
	v_dual_mov_b32 v3, s1 :: v_dual_mov_b32 v2, s0
	s_xor_b32 exec_lo, exec_lo, s16
	s_cbranch_execz .LBB16_11
; %bb.8:
	v_add_co_u32 v2, s14, v0, s7
	s_delay_alu instid0(VALU_DEP_1)
	v_add_co_ci_u32_e64 v3, null, 0, 0, s14
	v_and_b32_e32 v8, -2, v6
	v_lshlrev_b32_e32 v4, 1, v0
	s_lshl_b64 s[0:1], s[2:3], 1
	s_mov_b32 s15, 0
	s_waitcnt lgkmcnt(0)
	s_add_u32 s0, s8, s0
	s_addc_u32 s1, s9, s1
	v_add_co_u32 v10, s0, s0, v4
	v_mov_b32_e32 v5, v3
	v_mov_b32_e32 v13, v9
	v_add_co_ci_u32_e64 v11, null, s1, 0, s0
	v_mov_b32_e32 v12, v8
	v_dual_mov_b32 v4, v2 :: v_dual_mov_b32 v3, v1
	v_mov_b32_e32 v2, v0
	s_xor_b32 s19, s6, 0x80000000
	s_mov_b32 s17, s2
	s_mov_b32 s18, s3
	;; [unrolled: 1-line block ×5, first 2 shown]
	s_lshl_b32 s14, s7, 2
	s_mov_b32 s23, s15
.LBB16_9:                               ; =>This Inner Loop Header: Depth=1
	v_add_co_u32 v14, vcc_lo, v2, s2
	v_add_co_ci_u32_e32 v15, vcc_lo, s3, v3, vcc_lo
	v_add_co_u32 v16, vcc_lo, v4, s17
	v_add_co_ci_u32_e32 v17, vcc_lo, s18, v5, vcc_lo
	s_delay_alu instid0(VALU_DEP_3) | instskip(SKIP_1) | instid1(VALU_DEP_3)
	v_lshlrev_b64 v[18:19], 2, v[14:15]
	v_lshlrev_b64 v[14:15], 1, v[14:15]
	;; [unrolled: 1-line block ×4, first 2 shown]
	s_delay_alu instid0(VALU_DEP_4) | instskip(SKIP_2) | instid1(VALU_DEP_4)
	v_add_co_u32 v18, vcc_lo, s10, v18
	v_add_co_ci_u32_e32 v19, vcc_lo, s11, v19, vcc_lo
	v_or_b32_e32 v14, 1, v14
	v_add_co_u32 v16, vcc_lo, s10, v16
	v_add_co_ci_u32_e32 v17, vcc_lo, s11, v17, vcc_lo
	v_or_b32_e32 v20, 1, v20
	s_delay_alu instid0(VALU_DEP_4)
	v_lshlrev_b64 v[14:15], 1, v[14:15]
	s_clause 0x1
	global_load_u16 v18, v[18:19], off
	global_load_u16 v19, v[16:17], off
	v_lshlrev_b64 v[16:17], 1, v[20:21]
	v_add_co_u32 v14, vcc_lo, s10, v14
	v_add_co_ci_u32_e32 v15, vcc_lo, s11, v15, vcc_lo
	s_delay_alu instid0(VALU_DEP_3) | instskip(NEXT) | instid1(VALU_DEP_4)
	v_add_co_u32 v16, vcc_lo, s10, v16
	v_add_co_ci_u32_e32 v17, vcc_lo, s11, v17, vcc_lo
	s_clause 0x1
	global_load_u16 v14, v[14:15], off
	global_load_u16 v15, v[16:17], off
	v_add_co_u32 v4, vcc_lo, v4, 2
	v_add_co_ci_u32_e32 v5, vcc_lo, 0, v5, vcc_lo
	v_add_co_u32 v12, vcc_lo, v12, -2
	v_add_co_ci_u32_e32 v13, vcc_lo, -1, v13, vcc_lo
	v_add_co_u32 v2, vcc_lo, v2, 2
	v_add_co_ci_u32_e32 v3, vcc_lo, 0, v3, vcc_lo
	s_delay_alu instid0(VALU_DEP_3) | instskip(NEXT) | instid1(VALU_DEP_1)
	v_cmp_eq_u64_e64 s0, 0, v[12:13]
	s_or_b32 s23, s0, s23
	s_waitcnt vmcnt(3)
	v_cvt_f32_f16_e32 v16, v18
	s_waitcnt vmcnt(2)
	v_cvt_f32_f16_e32 v17, v19
	s_delay_alu instid0(VALU_DEP_2) | instskip(SKIP_1) | instid1(VALU_DEP_3)
	v_cmp_lt_f32_e32 vcc_lo, s6, v16
	v_cndmask_b32_e64 v16, v16, s6, vcc_lo
	v_cmp_lt_f32_e32 vcc_lo, s20, v17
	s_delay_alu instid0(VALU_DEP_2) | instskip(SKIP_4) | instid1(VALU_DEP_3)
	v_mul_f32_e64 v18, s22, -v16
	v_cndmask_b32_e64 v17, v17, s20, vcc_lo
	s_waitcnt vmcnt(0)
	v_cvt_f32_f16_e32 v15, v15
	v_cvt_f32_f16_e32 v14, v14
	v_mul_f32_e64 v19, s5, -v17
	v_mul_f32_e32 v20, 0x3fb8aa3b, v18
	s_delay_alu instid0(VALU_DEP_4) | instskip(NEXT) | instid1(VALU_DEP_4)
	v_cmp_gt_f32_e32 vcc_lo, s21, v15
	v_cmp_gt_f32_e64 s1, s19, v14
	s_delay_alu instid0(VALU_DEP_4) | instskip(NEXT) | instid1(VALU_DEP_4)
	v_mul_f32_e32 v21, 0x3fb8aa3b, v19
	v_rndne_f32_e32 v23, v20
	v_cndmask_b32_e64 v22, v15, s21, vcc_lo
	v_cmp_lt_f32_e32 vcc_lo, s20, v15
	v_cndmask_b32_e64 v15, v14, s19, s1
	v_cmp_lt_f32_e64 s1, s6, v14
	v_fma_f32 v14, 0x3fb8aa3b, v18, -v20
	v_fma_f32 v24, 0x3fb8aa3b, v19, -v21
	v_rndne_f32_e32 v25, v21
	v_sub_f32_e32 v20, v20, v23
	v_cvt_i32_f32_e32 v23, v23
	v_fmac_f32_e32 v14, 0x32a5705f, v18
	s_delay_alu instid0(VALU_DEP_4) | instskip(SKIP_2) | instid1(VALU_DEP_4)
	v_dual_fmac_f32 v24, 0x32a5705f, v19 :: v_dual_sub_f32 v21, v21, v25
	v_cndmask_b32_e64 v15, v15, s6, s1
	v_cvt_i32_f32_e32 v25, v25
	v_add_f32_e32 v14, v20, v14
	v_cmp_ngt_f32_e64 s1, 0xc2ce8ed0, v18
	v_add_f32_e32 v20, v21, v24
	v_cndmask_b32_e64 v22, v22, s20, vcc_lo
	v_cmp_ngt_f32_e32 vcc_lo, 0xc2ce8ed0, v19
	v_exp_f32_e32 v14, v14
	v_add_f32_e32 v15, 1.0, v15
	v_exp_f32_e32 v20, v20
	v_add_f32_e32 v22, 1.0, v22
	s_waitcnt_depctr 0xfff
	v_ldexp_f32 v14, v14, v23
	v_ldexp_f32 v20, v20, v25
	s_delay_alu instid0(VALU_DEP_2) | instskip(SKIP_1) | instid1(VALU_DEP_3)
	v_cndmask_b32_e64 v14, 0, v14, s1
	v_cmp_nlt_f32_e64 s1, 0x42b17218, v18
	v_cndmask_b32_e32 v20, 0, v20, vcc_lo
	v_cmp_nlt_f32_e32 vcc_lo, 0x42b17218, v19
	s_delay_alu instid0(VALU_DEP_3) | instskip(NEXT) | instid1(VALU_DEP_3)
	v_cndmask_b32_e64 v14, 0x7f800000, v14, s1
	v_cndmask_b32_e32 v18, 0x7f800000, v20, vcc_lo
	s_delay_alu instid0(VALU_DEP_2) | instskip(NEXT) | instid1(VALU_DEP_2)
	v_add_f32_e32 v14, 1.0, v14
	v_add_f32_e32 v18, 1.0, v18
	s_delay_alu instid0(VALU_DEP_2) | instskip(NEXT) | instid1(VALU_DEP_2)
	v_div_scale_f32 v19, null, v14, v14, 1.0
	v_div_scale_f32 v21, null, v18, v18, 1.0
	v_div_scale_f32 v20, vcc_lo, 1.0, v14, 1.0
	s_delay_alu instid0(VALU_DEP_3) | instskip(NEXT) | instid1(VALU_DEP_2)
	v_rcp_f32_e32 v24, v19
	v_rcp_f32_e32 v25, v21
	v_div_scale_f32 v23, s1, 1.0, v18, 1.0
	s_waitcnt_depctr 0xfff
	v_fma_f32 v26, -v19, v24, 1.0
	v_fma_f32 v27, -v21, v25, 1.0
	s_delay_alu instid0(VALU_DEP_1) | instskip(NEXT) | instid1(VALU_DEP_1)
	v_dual_fmac_f32 v24, v26, v24 :: v_dual_fmac_f32 v25, v27, v25
	v_dual_mul_f32 v26, v20, v24 :: v_dual_mul_f32 v27, v23, v25
	s_delay_alu instid0(VALU_DEP_1) | instskip(NEXT) | instid1(VALU_DEP_2)
	v_fma_f32 v28, -v19, v26, v20
	v_fma_f32 v29, -v21, v27, v23
	s_delay_alu instid0(VALU_DEP_1) | instskip(NEXT) | instid1(VALU_DEP_1)
	v_dual_fmac_f32 v26, v28, v24 :: v_dual_fmac_f32 v27, v29, v25
	v_fma_f32 v19, -v19, v26, v20
	s_delay_alu instid0(VALU_DEP_2) | instskip(NEXT) | instid1(VALU_DEP_2)
	v_fma_f32 v20, -v21, v27, v23
	v_div_fmas_f32 v19, v19, v24, v26
	s_mov_b32 vcc_lo, s1
	s_delay_alu instid0(VALU_DEP_2) | instskip(NEXT) | instid1(VALU_DEP_2)
	v_div_fmas_f32 v20, v20, v25, v27
	v_div_fixup_f32 v14, v19, v14, 1.0
	s_delay_alu instid0(VALU_DEP_2) | instskip(NEXT) | instid1(VALU_DEP_2)
	v_div_fixup_f32 v18, v20, v18, 1.0
	v_mul_f32_e32 v14, v16, v14
	s_delay_alu instid0(VALU_DEP_2) | instskip(NEXT) | instid1(VALU_DEP_2)
	v_mul_f32_e32 v16, v17, v18
	v_fma_mixlo_f16 v14, v15, v14, 0
	s_delay_alu instid0(VALU_DEP_1)
	v_fma_mixhi_f16 v14, v22, v16, 0
	global_store_b32 v[10:11], v14, off
	v_add_co_u32 v10, vcc_lo, v10, s14
	v_add_co_ci_u32_e32 v11, vcc_lo, 0, v11, vcc_lo
	s_and_not1_b32 exec_lo, exec_lo, s23
	s_cbranch_execnz .LBB16_9
; %bb.10:
	s_or_b32 exec_lo, exec_lo, s23
	v_mad_u64_u32 v[4:5], null, v8, s7, v[0:1]
	v_cmp_ne_u64_e32 vcc_lo, v[6:7], v[8:9]
	s_and_not1_b32 s0, s4, exec_lo
	s_and_b32 s1, vcc_lo, exec_lo
	s_delay_alu instid0(VALU_DEP_2) | instskip(SKIP_1) | instid1(VALU_DEP_1)
	v_mov_b32_e32 v0, v5
	s_or_b32 s4, s0, s1
	v_mad_u64_u32 v[1:2], null, v9, s7, v[0:1]
	v_dual_mov_b32 v2, s14 :: v_dual_mov_b32 v3, s15
	s_delay_alu instid0(VALU_DEP_2) | instskip(NEXT) | instid1(VALU_DEP_1)
	v_mov_b32_e32 v5, v1
	v_dual_mov_b32 v0, v4 :: v_dual_mov_b32 v1, v5
.LBB16_11:
	s_or_b32 exec_lo, exec_lo, s16
	s_delay_alu instid0(SALU_CYCLE_1)
	s_and_b32 exec_lo, exec_lo, s4
	s_cbranch_execz .LBB16_14
; %bb.12:
	s_delay_alu instid0(VALU_DEP_1) | instskip(SKIP_4) | instid1(VALU_DEP_2)
	v_add_co_u32 v4, vcc_lo, v0, s2
	v_add_co_ci_u32_e32 v5, vcc_lo, s3, v1, vcc_lo
	v_lshlrev_b64 v[6:7], 1, v[0:1]
	s_lshl_b64 s[0:1], s[2:3], 1
	s_mov_b32 s3, 0
	v_lshlrev_b64 v[4:5], 2, v[4:5]
	s_waitcnt lgkmcnt(0)
	s_add_u32 s0, s8, s0
	s_addc_u32 s1, s9, s1
	s_lshl_b32 s2, s7, 1
	s_delay_alu instid0(VALU_DEP_1) | instskip(SKIP_1) | instid1(VALU_DEP_2)
	v_add_co_u32 v4, vcc_lo, v4, s10
	v_add_co_ci_u32_e32 v5, vcc_lo, s11, v5, vcc_lo
	v_add_co_u32 v4, vcc_lo, v4, 2
	s_delay_alu instid0(VALU_DEP_2)
	v_add_co_ci_u32_e32 v5, vcc_lo, 0, v5, vcc_lo
	v_add_co_u32 v6, vcc_lo, s0, v6
	v_add_co_ci_u32_e32 v7, vcc_lo, s1, v7, vcc_lo
.LBB16_13:                              ; =>This Inner Loop Header: Depth=1
	global_load_b32 v8, v[4:5], off offset:-2
	v_add_co_u32 v0, vcc_lo, v0, s7
	v_add_co_ci_u32_e32 v1, vcc_lo, 0, v1, vcc_lo
	v_add_co_u32 v4, vcc_lo, v4, v2
	v_add_co_ci_u32_e32 v5, vcc_lo, v5, v3, vcc_lo
	s_delay_alu instid0(VALU_DEP_3) | instskip(NEXT) | instid1(VALU_DEP_1)
	v_cmp_le_i64_e64 s0, s[12:13], v[0:1]
	s_or_b32 s3, s0, s3
	s_waitcnt vmcnt(0)
	v_cvt_f32_f16_e32 v9, v8
	v_lshrrev_b32_e32 v8, 16, v8
	s_delay_alu instid0(VALU_DEP_2) | instskip(NEXT) | instid1(VALU_DEP_2)
	v_cmp_lt_f32_e32 vcc_lo, s6, v9
	v_cvt_f32_f16_e32 v8, v8
	v_cndmask_b32_e64 v9, v9, s6, vcc_lo
	s_delay_alu instid0(VALU_DEP_2) | instskip(SKIP_1) | instid1(VALU_DEP_3)
	v_cmp_lt_f32_e64 s1, v8, -s6
	v_cmp_lt_f32_e32 vcc_lo, s6, v8
	v_mul_f32_e64 v10, -v9, s5
	s_delay_alu instid0(VALU_DEP_3) | instskip(NEXT) | instid1(VALU_DEP_2)
	v_cndmask_b32_e64 v11, v8, -s6, s1
	v_cmp_ngt_f32_e64 s1, 0xc2ce8ed0, v10
	s_delay_alu instid0(VALU_DEP_2) | instskip(NEXT) | instid1(VALU_DEP_1)
	v_cndmask_b32_e64 v11, v11, s6, vcc_lo
	v_dual_mul_f32 v8, 0x3fb8aa3b, v10 :: v_dual_add_f32 v11, 1.0, v11
	s_delay_alu instid0(VALU_DEP_1) | instskip(SKIP_1) | instid1(VALU_DEP_2)
	v_fma_f32 v12, 0x3fb8aa3b, v10, -v8
	v_rndne_f32_e32 v13, v8
	v_fmac_f32_e32 v12, 0x32a5705f, v10
	s_delay_alu instid0(VALU_DEP_2) | instskip(NEXT) | instid1(VALU_DEP_1)
	v_sub_f32_e32 v8, v8, v13
	v_add_f32_e32 v8, v8, v12
	v_cvt_i32_f32_e32 v12, v13
	s_delay_alu instid0(VALU_DEP_2) | instskip(SKIP_2) | instid1(VALU_DEP_1)
	v_exp_f32_e32 v8, v8
	s_waitcnt_depctr 0xfff
	v_ldexp_f32 v8, v8, v12
	v_cndmask_b32_e64 v8, 0, v8, s1
	v_cmp_nlt_f32_e64 s1, 0x42b17218, v10
	s_delay_alu instid0(VALU_DEP_1) | instskip(NEXT) | instid1(VALU_DEP_1)
	v_cndmask_b32_e64 v8, 0x7f800000, v8, s1
	v_add_f32_e32 v8, 1.0, v8
	s_delay_alu instid0(VALU_DEP_1) | instskip(SKIP_1) | instid1(VALU_DEP_2)
	v_div_scale_f32 v10, null, v8, v8, 1.0
	v_div_scale_f32 v13, vcc_lo, 1.0, v8, 1.0
	v_rcp_f32_e32 v12, v10
	s_waitcnt_depctr 0xfff
	v_fma_f32 v14, -v10, v12, 1.0
	s_delay_alu instid0(VALU_DEP_1) | instskip(NEXT) | instid1(VALU_DEP_1)
	v_fmac_f32_e32 v12, v14, v12
	v_mul_f32_e32 v14, v13, v12
	s_delay_alu instid0(VALU_DEP_1) | instskip(NEXT) | instid1(VALU_DEP_1)
	v_fma_f32 v15, -v10, v14, v13
	v_fmac_f32_e32 v14, v15, v12
	s_delay_alu instid0(VALU_DEP_1) | instskip(NEXT) | instid1(VALU_DEP_1)
	v_fma_f32 v10, -v10, v14, v13
	v_div_fmas_f32 v10, v10, v12, v14
	s_delay_alu instid0(VALU_DEP_1) | instskip(NEXT) | instid1(VALU_DEP_1)
	v_div_fixup_f32 v8, v10, v8, 1.0
	v_mul_f32_e32 v8, v9, v8
	s_delay_alu instid0(VALU_DEP_1)
	v_fma_mixlo_f16 v8, v11, v8, 0
	global_store_b16 v[6:7], v8, off
	v_add_co_u32 v6, vcc_lo, v6, s2
	v_add_co_ci_u32_e32 v7, vcc_lo, 0, v7, vcc_lo
	s_and_not1_b32 exec_lo, exec_lo, s3
	s_cbranch_execnz .LBB16_13
.LBB16_14:
	s_nop 0
	s_sendmsg sendmsg(MSG_DEALLOC_VGPRS)
	s_endpgm
	.section	.rodata,"a",@progbits
	.p2align	6, 0x0
	.amdhsa_kernel _ZN4vllm24swigluoai_and_mul_kernelIN3c104HalfETnPFT_RKS3_S5_ffEXadL_ZNS_17swigluoai_and_mulIS2_EES3_S5_S5_ffEEEEvPS3_PS4_iff
		.amdhsa_group_segment_fixed_size 0
		.amdhsa_private_segment_fixed_size 0
		.amdhsa_kernarg_size 288
		.amdhsa_user_sgpr_count 15
		.amdhsa_user_sgpr_dispatch_ptr 0
		.amdhsa_user_sgpr_queue_ptr 0
		.amdhsa_user_sgpr_kernarg_segment_ptr 1
		.amdhsa_user_sgpr_dispatch_id 0
		.amdhsa_user_sgpr_private_segment_size 0
		.amdhsa_wavefront_size32 1
		.amdhsa_uses_dynamic_stack 0
		.amdhsa_enable_private_segment 0
		.amdhsa_system_sgpr_workgroup_id_x 1
		.amdhsa_system_sgpr_workgroup_id_y 0
		.amdhsa_system_sgpr_workgroup_id_z 0
		.amdhsa_system_sgpr_workgroup_info 0
		.amdhsa_system_vgpr_workitem_id 0
		.amdhsa_next_free_vgpr 30
		.amdhsa_next_free_sgpr 24
		.amdhsa_reserve_vcc 1
		.amdhsa_float_round_mode_32 0
		.amdhsa_float_round_mode_16_64 0
		.amdhsa_float_denorm_mode_32 3
		.amdhsa_float_denorm_mode_16_64 3
		.amdhsa_dx10_clamp 1
		.amdhsa_ieee_mode 1
		.amdhsa_fp16_overflow 0
		.amdhsa_workgroup_processor_mode 1
		.amdhsa_memory_ordered 1
		.amdhsa_forward_progress 0
		.amdhsa_shared_vgpr_count 0
		.amdhsa_exception_fp_ieee_invalid_op 0
		.amdhsa_exception_fp_denorm_src 0
		.amdhsa_exception_fp_ieee_div_zero 0
		.amdhsa_exception_fp_ieee_overflow 0
		.amdhsa_exception_fp_ieee_underflow 0
		.amdhsa_exception_fp_ieee_inexact 0
		.amdhsa_exception_int_div_zero 0
	.end_amdhsa_kernel
	.section	.text._ZN4vllm24swigluoai_and_mul_kernelIN3c104HalfETnPFT_RKS3_S5_ffEXadL_ZNS_17swigluoai_and_mulIS2_EES3_S5_S5_ffEEEEvPS3_PS4_iff,"axG",@progbits,_ZN4vllm24swigluoai_and_mul_kernelIN3c104HalfETnPFT_RKS3_S5_ffEXadL_ZNS_17swigluoai_and_mulIS2_EES3_S5_S5_ffEEEEvPS3_PS4_iff,comdat
.Lfunc_end16:
	.size	_ZN4vllm24swigluoai_and_mul_kernelIN3c104HalfETnPFT_RKS3_S5_ffEXadL_ZNS_17swigluoai_and_mulIS2_EES3_S5_S5_ffEEEEvPS3_PS4_iff, .Lfunc_end16-_ZN4vllm24swigluoai_and_mul_kernelIN3c104HalfETnPFT_RKS3_S5_ffEXadL_ZNS_17swigluoai_and_mulIS2_EES3_S5_S5_ffEEEEvPS3_PS4_iff
                                        ; -- End function
	.section	.AMDGPU.csdata,"",@progbits
; Kernel info:
; codeLenInByte = 2668
; NumSgprs: 26
; NumVgprs: 30
; ScratchSize: 0
; MemoryBound: 0
; FloatMode: 240
; IeeeMode: 1
; LDSByteSize: 0 bytes/workgroup (compile time only)
; SGPRBlocks: 3
; VGPRBlocks: 3
; NumSGPRsForWavesPerEU: 26
; NumVGPRsForWavesPerEU: 30
; Occupancy: 16
; WaveLimiterHint : 0
; COMPUTE_PGM_RSRC2:SCRATCH_EN: 0
; COMPUTE_PGM_RSRC2:USER_SGPR: 15
; COMPUTE_PGM_RSRC2:TRAP_HANDLER: 0
; COMPUTE_PGM_RSRC2:TGID_X_EN: 1
; COMPUTE_PGM_RSRC2:TGID_Y_EN: 0
; COMPUTE_PGM_RSRC2:TGID_Z_EN: 0
; COMPUTE_PGM_RSRC2:TIDIG_COMP_CNT: 0
	.section	.text._ZN4vllm24swigluoai_and_mul_kernelIN3c108BFloat16ETnPFT_RKS3_S5_ffEXadL_ZNS_17swigluoai_and_mulIS2_EES3_S5_S5_ffEEEEvPS3_PS4_iff,"axG",@progbits,_ZN4vllm24swigluoai_and_mul_kernelIN3c108BFloat16ETnPFT_RKS3_S5_ffEXadL_ZNS_17swigluoai_and_mulIS2_EES3_S5_S5_ffEEEEvPS3_PS4_iff,comdat
	.protected	_ZN4vllm24swigluoai_and_mul_kernelIN3c108BFloat16ETnPFT_RKS3_S5_ffEXadL_ZNS_17swigluoai_and_mulIS2_EES3_S5_S5_ffEEEEvPS3_PS4_iff ; -- Begin function _ZN4vllm24swigluoai_and_mul_kernelIN3c108BFloat16ETnPFT_RKS3_S5_ffEXadL_ZNS_17swigluoai_and_mulIS2_EES3_S5_S5_ffEEEEvPS3_PS4_iff
	.globl	_ZN4vllm24swigluoai_and_mul_kernelIN3c108BFloat16ETnPFT_RKS3_S5_ffEXadL_ZNS_17swigluoai_and_mulIS2_EES3_S5_S5_ffEEEEvPS3_PS4_iff
	.p2align	8
	.type	_ZN4vllm24swigluoai_and_mul_kernelIN3c108BFloat16ETnPFT_RKS3_S5_ffEXadL_ZNS_17swigluoai_and_mulIS2_EES3_S5_S5_ffEEEEvPS3_PS4_iff,@function
_ZN4vllm24swigluoai_and_mul_kernelIN3c108BFloat16ETnPFT_RKS3_S5_ffEXadL_ZNS_17swigluoai_and_mulIS2_EES3_S5_S5_ffEEEEvPS3_PS4_iff: ; @_ZN4vllm24swigluoai_and_mul_kernelIN3c108BFloat16ETnPFT_RKS3_S5_ffEXadL_ZNS_17swigluoai_and_mulIS2_EES3_S5_S5_ffEEEEvPS3_PS4_iff
; %bb.0:
	s_load_b128 s[4:7], s[0:1], 0x10
	s_mov_b32 s2, exec_lo
	s_waitcnt lgkmcnt(0)
	v_cmpx_gt_i32_e64 s4, v0
	s_cbranch_execz .LBB17_14
; %bb.1:
	s_load_b32 s2, s[0:1], 0x2c
	s_mov_b32 s12, s4
	s_ashr_i32 s13, s4, 31
	s_waitcnt lgkmcnt(0)
	s_and_b32 s7, s2, 0xffff
	s_delay_alu instid0(SALU_CYCLE_1) | instskip(NEXT) | instid1(VALU_DEP_1)
	v_add_co_u32 v1, s2, v0, s7
	v_add_co_ci_u32_e64 v2, null, 0, 0, s2
	s_delay_alu instid0(VALU_DEP_1) | instskip(SKIP_1) | instid1(VALU_DEP_2)
	v_cmp_gt_i64_e64 s2, s[12:13], v[1:2]
	v_cmp_lt_i64_e32 vcc_lo, s[12:13], v[1:2]
	v_cndmask_b32_e64 v6, 0, 1, s2
	v_cndmask_b32_e32 v3, s13, v2, vcc_lo
	v_cndmask_b32_e32 v4, s4, v1, vcc_lo
	s_mov_b32 s2, exec_lo
	s_delay_alu instid0(VALU_DEP_3) | instskip(SKIP_2) | instid1(VALU_DEP_3)
	v_add_co_u32 v5, vcc_lo, v1, v6
	v_mov_b32_e32 v1, 0
	v_add_co_ci_u32_e32 v2, vcc_lo, 0, v2, vcc_lo
	v_sub_co_u32 v7, vcc_lo, v4, v5
                                        ; implicit-def: $vgpr4_vgpr5
	s_delay_alu instid0(VALU_DEP_2) | instskip(NEXT) | instid1(VALU_DEP_4)
	v_sub_co_ci_u32_e32 v3, vcc_lo, v3, v2, vcc_lo
	v_mov_b32_e32 v2, v1
	s_delay_alu instid0(VALU_DEP_1)
	v_cmpx_ne_u64_e32 0, v[2:3]
	s_xor_b32 s3, exec_lo, s2
	s_cbranch_execz .LBB17_3
; %bb.2:
	v_cvt_f32_u32_e32 v2, s7
	s_sub_u32 s2, 0, s7
	s_subb_u32 s4, 0, 0
	s_delay_alu instid0(VALU_DEP_1) | instskip(NEXT) | instid1(VALU_DEP_1)
	v_fmamk_f32 v2, 0, 0x4f800000, v2
	v_rcp_f32_e32 v2, v2
	s_waitcnt_depctr 0xfff
	v_mul_f32_e32 v2, 0x5f7ffffc, v2
	s_delay_alu instid0(VALU_DEP_1) | instskip(NEXT) | instid1(VALU_DEP_1)
	v_mul_f32_e32 v4, 0x2f800000, v2
	v_trunc_f32_e32 v4, v4
	s_delay_alu instid0(VALU_DEP_1) | instskip(SKIP_1) | instid1(VALU_DEP_2)
	v_fmamk_f32 v2, v4, 0xcf800000, v2
	v_cvt_u32_f32_e32 v4, v4
	v_cvt_u32_f32_e32 v2, v2
	s_delay_alu instid0(VALU_DEP_2) | instskip(NEXT) | instid1(VALU_DEP_2)
	v_mul_lo_u32 v5, s2, v4
	v_mul_hi_u32 v8, s2, v2
	v_mul_lo_u32 v9, s4, v2
	s_delay_alu instid0(VALU_DEP_2) | instskip(SKIP_1) | instid1(VALU_DEP_2)
	v_add_nc_u32_e32 v5, v8, v5
	v_mul_lo_u32 v8, s2, v2
	v_add_nc_u32_e32 v5, v5, v9
	s_delay_alu instid0(VALU_DEP_2) | instskip(NEXT) | instid1(VALU_DEP_2)
	v_mul_hi_u32 v9, v2, v8
	v_mul_lo_u32 v10, v2, v5
	v_mul_hi_u32 v11, v2, v5
	v_mul_hi_u32 v12, v4, v8
	v_mul_lo_u32 v8, v4, v8
	v_mul_hi_u32 v13, v4, v5
	v_mul_lo_u32 v5, v4, v5
	v_add_co_u32 v9, vcc_lo, v9, v10
	v_add_co_ci_u32_e32 v10, vcc_lo, 0, v11, vcc_lo
	s_delay_alu instid0(VALU_DEP_2) | instskip(NEXT) | instid1(VALU_DEP_2)
	v_add_co_u32 v8, vcc_lo, v9, v8
	v_add_co_ci_u32_e32 v8, vcc_lo, v10, v12, vcc_lo
	v_add_co_ci_u32_e32 v9, vcc_lo, 0, v13, vcc_lo
	s_delay_alu instid0(VALU_DEP_2) | instskip(NEXT) | instid1(VALU_DEP_2)
	v_add_co_u32 v5, vcc_lo, v8, v5
	v_add_co_ci_u32_e32 v8, vcc_lo, 0, v9, vcc_lo
	s_delay_alu instid0(VALU_DEP_2) | instskip(NEXT) | instid1(VALU_DEP_2)
	v_add_co_u32 v2, vcc_lo, v2, v5
	v_add_co_ci_u32_e32 v4, vcc_lo, v4, v8, vcc_lo
	s_delay_alu instid0(VALU_DEP_2) | instskip(SKIP_1) | instid1(VALU_DEP_3)
	v_mul_hi_u32 v5, s2, v2
	v_mul_lo_u32 v9, s4, v2
	v_mul_lo_u32 v8, s2, v4
	s_delay_alu instid0(VALU_DEP_1) | instskip(SKIP_1) | instid1(VALU_DEP_2)
	v_add_nc_u32_e32 v5, v5, v8
	v_mul_lo_u32 v8, s2, v2
	v_add_nc_u32_e32 v5, v5, v9
	s_delay_alu instid0(VALU_DEP_2) | instskip(NEXT) | instid1(VALU_DEP_2)
	v_mul_hi_u32 v9, v2, v8
	v_mul_lo_u32 v10, v2, v5
	v_mul_hi_u32 v11, v2, v5
	v_mul_hi_u32 v12, v4, v8
	v_mul_lo_u32 v8, v4, v8
	v_mul_hi_u32 v13, v4, v5
	v_mul_lo_u32 v5, v4, v5
	v_add_co_u32 v9, vcc_lo, v9, v10
	v_add_co_ci_u32_e32 v10, vcc_lo, 0, v11, vcc_lo
	s_delay_alu instid0(VALU_DEP_2) | instskip(NEXT) | instid1(VALU_DEP_2)
	v_add_co_u32 v8, vcc_lo, v9, v8
	v_add_co_ci_u32_e32 v8, vcc_lo, v10, v12, vcc_lo
	v_add_co_ci_u32_e32 v9, vcc_lo, 0, v13, vcc_lo
	s_delay_alu instid0(VALU_DEP_2) | instskip(NEXT) | instid1(VALU_DEP_2)
	v_add_co_u32 v5, vcc_lo, v8, v5
	v_add_co_ci_u32_e32 v8, vcc_lo, 0, v9, vcc_lo
	s_delay_alu instid0(VALU_DEP_2) | instskip(NEXT) | instid1(VALU_DEP_2)
	v_add_co_u32 v2, vcc_lo, v2, v5
	v_add_co_ci_u32_e32 v12, vcc_lo, v4, v8, vcc_lo
	s_delay_alu instid0(VALU_DEP_2) | instskip(SKIP_1) | instid1(VALU_DEP_3)
	v_mul_hi_u32 v13, v7, v2
	v_mad_u64_u32 v[8:9], null, v3, v2, 0
	v_mad_u64_u32 v[4:5], null, v7, v12, 0
	;; [unrolled: 1-line block ×3, first 2 shown]
	s_delay_alu instid0(VALU_DEP_2) | instskip(NEXT) | instid1(VALU_DEP_3)
	v_add_co_u32 v2, vcc_lo, v13, v4
	v_add_co_ci_u32_e32 v4, vcc_lo, 0, v5, vcc_lo
	s_delay_alu instid0(VALU_DEP_2) | instskip(NEXT) | instid1(VALU_DEP_2)
	v_add_co_u32 v2, vcc_lo, v2, v8
	v_add_co_ci_u32_e32 v2, vcc_lo, v4, v9, vcc_lo
	v_add_co_ci_u32_e32 v4, vcc_lo, 0, v11, vcc_lo
	s_delay_alu instid0(VALU_DEP_2) | instskip(NEXT) | instid1(VALU_DEP_2)
	v_add_co_u32 v10, vcc_lo, v2, v10
	v_add_co_ci_u32_e32 v11, vcc_lo, 0, v4, vcc_lo
	s_delay_alu instid0(VALU_DEP_2) | instskip(NEXT) | instid1(VALU_DEP_1)
	v_mad_u64_u32 v[4:5], null, s7, v10, 0
	v_mov_b32_e32 v2, v5
	s_delay_alu instid0(VALU_DEP_1) | instskip(NEXT) | instid1(VALU_DEP_3)
	v_mad_u64_u32 v[8:9], null, s7, v11, v[2:3]
	v_sub_co_u32 v2, vcc_lo, v7, v4
	s_delay_alu instid0(VALU_DEP_2) | instskip(NEXT) | instid1(VALU_DEP_2)
	v_sub_co_ci_u32_e32 v3, vcc_lo, v3, v8, vcc_lo
	v_sub_co_u32 v4, vcc_lo, v2, s7
	s_delay_alu instid0(VALU_DEP_2) | instskip(NEXT) | instid1(VALU_DEP_2)
	v_subrev_co_ci_u32_e32 v5, vcc_lo, 0, v3, vcc_lo
	v_cmp_le_u32_e32 vcc_lo, s7, v4
	v_cmp_eq_u32_e64 s2, 0, v3
	v_cndmask_b32_e64 v4, 0, -1, vcc_lo
	v_add_co_u32 v7, vcc_lo, v10, 2
	v_add_co_ci_u32_e32 v8, vcc_lo, 0, v11, vcc_lo
	v_cmp_le_u32_e32 vcc_lo, s7, v2
	v_cndmask_b32_e64 v2, 0, -1, vcc_lo
	v_cmp_eq_u32_e32 vcc_lo, 0, v5
	s_delay_alu instid0(VALU_DEP_2) | instskip(SKIP_3) | instid1(VALU_DEP_3)
	v_cndmask_b32_e64 v2, -1, v2, s2
	v_cndmask_b32_e32 v4, -1, v4, vcc_lo
	v_add_co_u32 v5, vcc_lo, v10, 1
	v_add_co_ci_u32_e32 v9, vcc_lo, 0, v11, vcc_lo
	v_cmp_ne_u32_e32 vcc_lo, 0, v4
	s_delay_alu instid0(VALU_DEP_2) | instskip(NEXT) | instid1(VALU_DEP_4)
	v_cndmask_b32_e32 v3, v9, v8, vcc_lo
	v_cndmask_b32_e32 v4, v5, v7, vcc_lo
	v_cmp_ne_u32_e32 vcc_lo, 0, v2
                                        ; kill: def $vgpr2 killed $sgpr0 killed $exec
                                        ; implicit-def: $vgpr7
	s_delay_alu instid0(VALU_DEP_2)
	v_dual_cndmask_b32 v5, v11, v3 :: v_dual_cndmask_b32 v4, v10, v4
.LBB17_3:
	s_and_not1_saveexec_b32 s2, s3
	s_cbranch_execz .LBB17_5
; %bb.4:
	v_cvt_f32_u32_e32 v2, s7
	s_sub_i32 s3, 0, s7
	s_delay_alu instid0(VALU_DEP_1) | instskip(SKIP_2) | instid1(VALU_DEP_1)
	v_rcp_iflag_f32_e32 v2, v2
	s_waitcnt_depctr 0xfff
	v_mul_f32_e32 v2, 0x4f7ffffe, v2
	v_cvt_u32_f32_e32 v2, v2
	s_delay_alu instid0(VALU_DEP_1) | instskip(NEXT) | instid1(VALU_DEP_1)
	v_mul_lo_u32 v3, s3, v2
	v_mul_hi_u32 v3, v2, v3
	s_delay_alu instid0(VALU_DEP_1) | instskip(NEXT) | instid1(VALU_DEP_1)
	v_add_nc_u32_e32 v2, v2, v3
	v_mul_hi_u32 v2, v7, v2
	s_delay_alu instid0(VALU_DEP_1) | instskip(SKIP_1) | instid1(VALU_DEP_2)
	v_mul_lo_u32 v3, v2, s7
	v_add_nc_u32_e32 v4, 1, v2
	v_sub_nc_u32_e32 v3, v7, v3
	s_delay_alu instid0(VALU_DEP_1) | instskip(SKIP_1) | instid1(VALU_DEP_2)
	v_subrev_nc_u32_e32 v5, s7, v3
	v_cmp_le_u32_e32 vcc_lo, s7, v3
	v_cndmask_b32_e32 v3, v3, v5, vcc_lo
	v_dual_mov_b32 v5, 0 :: v_dual_cndmask_b32 v2, v2, v4
	s_delay_alu instid0(VALU_DEP_2) | instskip(NEXT) | instid1(VALU_DEP_2)
	v_cmp_le_u32_e32 vcc_lo, s7, v3
	v_add_nc_u32_e32 v4, 1, v2
	s_delay_alu instid0(VALU_DEP_1)
	v_cndmask_b32_e32 v4, v2, v4, vcc_lo
.LBB17_5:
	s_or_b32 exec_lo, exec_lo, s2
	s_load_b128 s[8:11], s[0:1], 0x0
	s_delay_alu instid0(VALU_DEP_1) | instskip(SKIP_2) | instid1(VALU_DEP_3)
	v_add_co_u32 v2, vcc_lo, v4, v6
	v_add_co_ci_u32_e32 v3, vcc_lo, 0, v5, vcc_lo
	v_cmp_ne_u16_e64 s4, s7, 1
	v_add_co_u32 v6, vcc_lo, v2, 1
	s_delay_alu instid0(VALU_DEP_3) | instskip(SKIP_3) | instid1(VALU_DEP_1)
	v_add_co_ci_u32_e32 v7, vcc_lo, 0, v3, vcc_lo
	s_mul_i32 s0, s15, s13
	s_mul_hi_u32 s1, s15, s12
	s_mul_i32 s2, s15, s12
	v_cmp_gt_u64_e32 vcc_lo, 2, v[6:7]
	v_mov_b32_e32 v9, v7
	s_add_i32 s3, s1, s0
                                        ; kill: def $vgpr2_vgpr3 killed $sgpr0_sgpr1 killed $exec
                                        ; implicit-def: $sgpr0_sgpr1
	s_or_b32 s14, vcc_lo, s4
	s_mov_b32 s4, 0
	s_and_saveexec_b32 s15, s14
	s_delay_alu instid0(SALU_CYCLE_1)
	s_xor_b32 s14, exec_lo, s15
; %bb.6:
	s_mov_b32 s4, exec_lo
	s_lshl_b32 s0, s7, 2
	s_mov_b32 s1, 0
                                        ; implicit-def: $vgpr6_vgpr7
                                        ; implicit-def: $vgpr9
; %bb.7:
	s_or_saveexec_b32 s16, s14
	v_dual_mov_b32 v3, s1 :: v_dual_mov_b32 v2, s0
	s_xor_b32 exec_lo, exec_lo, s16
	s_cbranch_execz .LBB17_11
; %bb.8:
	v_add_co_u32 v2, s14, v0, s7
	s_delay_alu instid0(VALU_DEP_1)
	v_add_co_ci_u32_e64 v3, null, 0, 0, s14
	v_and_b32_e32 v8, -2, v6
	v_lshlrev_b32_e32 v4, 1, v0
	s_lshl_b64 s[0:1], s[2:3], 1
	s_mov_b32 s15, 0
	s_waitcnt lgkmcnt(0)
	s_add_u32 s0, s8, s0
	s_addc_u32 s1, s9, s1
	v_add_co_u32 v10, s0, s0, v4
	v_mov_b32_e32 v5, v3
	v_mov_b32_e32 v13, v9
	v_add_co_ci_u32_e64 v11, null, s1, 0, s0
	v_mov_b32_e32 v12, v8
	v_dual_mov_b32 v4, v2 :: v_dual_mov_b32 v3, v1
	v_mov_b32_e32 v2, v0
	s_xor_b32 s19, s6, 0x80000000
	s_mov_b32 s17, s2
	s_mov_b32 s18, s3
	;; [unrolled: 1-line block ×5, first 2 shown]
	s_lshl_b32 s14, s7, 2
	s_mov_b32 s23, s15
.LBB17_9:                               ; =>This Inner Loop Header: Depth=1
	v_add_co_u32 v14, vcc_lo, v4, s17
	v_add_co_ci_u32_e32 v15, vcc_lo, s18, v5, vcc_lo
	v_add_co_u32 v16, vcc_lo, v2, s2
	v_add_co_ci_u32_e32 v17, vcc_lo, s3, v3, vcc_lo
	s_delay_alu instid0(VALU_DEP_3) | instskip(SKIP_1) | instid1(VALU_DEP_3)
	v_lshlrev_b64 v[18:19], 2, v[14:15]
	v_lshlrev_b64 v[14:15], 1, v[14:15]
	;; [unrolled: 1-line block ×4, first 2 shown]
	s_delay_alu instid0(VALU_DEP_4) | instskip(SKIP_1) | instid1(VALU_DEP_3)
	v_add_co_u32 v18, vcc_lo, s10, v18
	v_add_co_ci_u32_e32 v19, vcc_lo, s11, v19, vcc_lo
	v_add_co_u32 v16, vcc_lo, s10, v16
	s_delay_alu instid0(VALU_DEP_4)
	v_add_co_ci_u32_e32 v17, vcc_lo, s11, v17, vcc_lo
	s_clause 0x1
	global_load_u16 v18, v[18:19], off
	global_load_u16 v19, v[16:17], off
	v_or_b32_e32 v20, 1, v20
	v_or_b32_e32 v14, 1, v14
	s_delay_alu instid0(VALU_DEP_2) | instskip(NEXT) | instid1(VALU_DEP_2)
	v_lshlrev_b64 v[20:21], 1, v[20:21]
	v_lshlrev_b64 v[14:15], 1, v[14:15]
	s_delay_alu instid0(VALU_DEP_2) | instskip(NEXT) | instid1(VALU_DEP_3)
	v_add_co_u32 v16, vcc_lo, s10, v20
	v_add_co_ci_u32_e32 v17, vcc_lo, s11, v21, vcc_lo
	s_delay_alu instid0(VALU_DEP_3) | instskip(NEXT) | instid1(VALU_DEP_4)
	v_add_co_u32 v14, vcc_lo, s10, v14
	v_add_co_ci_u32_e32 v15, vcc_lo, s11, v15, vcc_lo
	s_clause 0x1
	global_load_u16 v16, v[16:17], off
	global_load_u16 v14, v[14:15], off
	v_add_co_u32 v4, vcc_lo, v4, 2
	v_add_co_ci_u32_e32 v5, vcc_lo, 0, v5, vcc_lo
	v_add_co_u32 v12, vcc_lo, v12, -2
	v_add_co_ci_u32_e32 v13, vcc_lo, -1, v13, vcc_lo
	v_add_co_u32 v2, vcc_lo, v2, 2
	v_add_co_ci_u32_e32 v3, vcc_lo, 0, v3, vcc_lo
	s_delay_alu instid0(VALU_DEP_3) | instskip(NEXT) | instid1(VALU_DEP_1)
	v_cmp_eq_u64_e64 s0, 0, v[12:13]
	s_or_b32 s23, s0, s23
	s_waitcnt vmcnt(3)
	v_lshlrev_b32_e32 v15, 16, v18
	s_delay_alu instid0(VALU_DEP_1) | instskip(SKIP_1) | instid1(VALU_DEP_1)
	v_cmp_lt_f32_e32 vcc_lo, s20, v15
	v_cndmask_b32_e64 v15, v15, s20, vcc_lo
	v_mul_f32_e64 v18, s5, -v15
	s_waitcnt vmcnt(2)
	s_delay_alu instid0(VALU_DEP_1) | instskip(NEXT) | instid1(VALU_DEP_1)
	v_dual_mul_f32 v20, 0x3fb8aa3b, v18 :: v_dual_lshlrev_b32 v17, 16, v19
	v_cmp_lt_f32_e32 vcc_lo, s6, v17
	s_delay_alu instid0(VALU_DEP_2) | instskip(SKIP_1) | instid1(VALU_DEP_1)
	v_rndne_f32_e32 v23, v20
	v_cndmask_b32_e64 v17, v17, s6, vcc_lo
	v_mul_f32_e64 v19, s22, -v17
	s_waitcnt vmcnt(1)
	s_delay_alu instid0(VALU_DEP_1) | instskip(NEXT) | instid1(VALU_DEP_1)
	v_dual_mul_f32 v21, 0x3fb8aa3b, v19 :: v_dual_lshlrev_b32 v16, 16, v16
	v_cmp_gt_f32_e32 vcc_lo, s19, v16
	s_delay_alu instid0(VALU_DEP_2)
	v_rndne_f32_e32 v25, v21
	s_waitcnt vmcnt(0)
	v_lshlrev_b32_e32 v14, 16, v14
	v_fma_f32 v24, 0x3fb8aa3b, v19, -v21
	v_cndmask_b32_e64 v22, v16, s19, vcc_lo
	v_cmp_lt_f32_e32 vcc_lo, s6, v16
	v_sub_f32_e32 v21, v21, v25
	v_cmp_gt_f32_e64 s1, s21, v14
	v_cvt_i32_f32_e32 v25, v25
	v_cndmask_b32_e64 v22, v22, s6, vcc_lo
	v_fmac_f32_e32 v24, 0x32a5705f, v19
	s_delay_alu instid0(VALU_DEP_4)
	v_cndmask_b32_e64 v16, v14, s21, s1
	v_cmp_lt_f32_e64 s1, s20, v14
	v_fma_f32 v14, 0x3fb8aa3b, v18, -v20
	v_sub_f32_e32 v20, v20, v23
	v_cvt_i32_f32_e32 v23, v23
	v_cmp_ngt_f32_e32 vcc_lo, 0xc2ce8ed0, v19
	v_cndmask_b32_e64 v16, v16, s20, s1
	v_fmac_f32_e32 v14, 0x32a5705f, v18
	v_cmp_ngt_f32_e64 s1, 0xc2ce8ed0, v18
	s_delay_alu instid0(VALU_DEP_2) | instskip(SKIP_1) | instid1(VALU_DEP_2)
	v_add_f32_e32 v14, v20, v14
	v_dual_add_f32 v20, v21, v24 :: v_dual_add_f32 v21, 1.0, v22
	v_exp_f32_e32 v14, v14
	s_delay_alu instid0(VALU_DEP_1) | instskip(SKIP_3) | instid1(VALU_DEP_2)
	v_exp_f32_e32 v20, v20
	s_waitcnt_depctr 0xfff
	v_ldexp_f32 v14, v14, v23
	v_ldexp_f32 v20, v20, v25
	v_cndmask_b32_e64 v14, 0, v14, s1
	s_delay_alu instid0(VALU_DEP_2) | instskip(SKIP_2) | instid1(VALU_DEP_3)
	v_cndmask_b32_e32 v20, 0, v20, vcc_lo
	v_cmp_nlt_f32_e32 vcc_lo, 0x42b17218, v19
	v_cmp_nlt_f32_e64 s1, 0x42b17218, v18
	v_cndmask_b32_e32 v18, 0x7f800000, v20, vcc_lo
	s_delay_alu instid0(VALU_DEP_2) | instskip(NEXT) | instid1(VALU_DEP_2)
	v_cndmask_b32_e64 v14, 0x7f800000, v14, s1
	v_add_f32_e32 v18, 1.0, v18
	s_delay_alu instid0(VALU_DEP_1) | instskip(SKIP_1) | instid1(VALU_DEP_2)
	v_div_scale_f32 v20, null, v18, v18, 1.0
	v_div_scale_f32 v25, s1, 1.0, v18, 1.0
	v_rcp_f32_e32 v24, v20
	s_waitcnt_depctr 0xfff
	v_fma_f32 v27, -v20, v24, 1.0
	s_delay_alu instid0(VALU_DEP_1) | instskip(NEXT) | instid1(VALU_DEP_1)
	v_fmac_f32_e32 v24, v27, v24
	v_mul_f32_e32 v27, v25, v24
	s_delay_alu instid0(VALU_DEP_1) | instskip(NEXT) | instid1(VALU_DEP_1)
	v_fma_f32 v29, -v20, v27, v25
	v_dual_add_f32 v14, 1.0, v14 :: v_dual_fmac_f32 v27, v29, v24
	s_delay_alu instid0(VALU_DEP_1) | instskip(SKIP_1) | instid1(VALU_DEP_3)
	v_div_scale_f32 v19, null, v14, v14, 1.0
	v_div_scale_f32 v22, vcc_lo, 1.0, v14, 1.0
	v_fma_f32 v20, -v20, v27, v25
	s_delay_alu instid0(VALU_DEP_3) | instskip(SKIP_2) | instid1(VALU_DEP_1)
	v_rcp_f32_e32 v23, v19
	s_waitcnt_depctr 0xfff
	v_fma_f32 v26, -v19, v23, 1.0
	v_fmac_f32_e32 v23, v26, v23
	s_delay_alu instid0(VALU_DEP_1) | instskip(NEXT) | instid1(VALU_DEP_1)
	v_mul_f32_e32 v26, v22, v23
	v_fma_f32 v28, -v19, v26, v22
	s_delay_alu instid0(VALU_DEP_1) | instskip(NEXT) | instid1(VALU_DEP_1)
	v_fmac_f32_e32 v26, v28, v23
	v_fma_f32 v19, -v19, v26, v22
	s_delay_alu instid0(VALU_DEP_1) | instskip(SKIP_2) | instid1(VALU_DEP_2)
	v_div_fmas_f32 v19, v19, v23, v26
	s_mov_b32 vcc_lo, s1
	v_div_fmas_f32 v20, v20, v24, v27
	v_div_fixup_f32 v14, v19, v14, 1.0
	s_delay_alu instid0(VALU_DEP_2) | instskip(SKIP_1) | instid1(VALU_DEP_3)
	v_div_fixup_f32 v18, v20, v18, 1.0
	v_add_f32_e32 v16, 1.0, v16
	v_mul_f32_e32 v14, v15, v14
	s_delay_alu instid0(VALU_DEP_3) | instskip(NEXT) | instid1(VALU_DEP_1)
	v_mul_f32_e32 v15, v17, v18
	v_dual_mul_f32 v14, v16, v14 :: v_dual_mul_f32 v15, v21, v15
	s_delay_alu instid0(VALU_DEP_1) | instskip(SKIP_1) | instid1(VALU_DEP_3)
	v_bfe_u32 v16, v14, 16, 1
	v_cmp_o_f32_e32 vcc_lo, v14, v14
	v_bfe_u32 v17, v15, 16, 1
	v_cmp_o_f32_e64 s1, v15, v15
	s_delay_alu instid0(VALU_DEP_4) | instskip(NEXT) | instid1(VALU_DEP_3)
	v_add3_u32 v16, v14, v16, 0x7fff
	v_add3_u32 v17, v15, v17, 0x7fff
	s_delay_alu instid0(VALU_DEP_2) | instskip(NEXT) | instid1(VALU_DEP_2)
	v_lshrrev_b32_e32 v16, 16, v16
	v_lshrrev_b32_e32 v14, 16, v17
	s_delay_alu instid0(VALU_DEP_2) | instskip(NEXT) | instid1(VALU_DEP_2)
	v_cndmask_b32_e32 v15, 0x7fc0, v16, vcc_lo
	v_cndmask_b32_e64 v14, 0x7fc0, v14, s1
	s_delay_alu instid0(VALU_DEP_1)
	v_perm_b32 v14, v15, v14, 0x5040100
	global_store_b32 v[10:11], v14, off
	v_add_co_u32 v10, vcc_lo, v10, s14
	v_add_co_ci_u32_e32 v11, vcc_lo, 0, v11, vcc_lo
	s_and_not1_b32 exec_lo, exec_lo, s23
	s_cbranch_execnz .LBB17_9
; %bb.10:
	s_or_b32 exec_lo, exec_lo, s23
	v_mad_u64_u32 v[4:5], null, v8, s7, v[0:1]
	v_cmp_ne_u64_e32 vcc_lo, v[6:7], v[8:9]
	s_and_not1_b32 s0, s4, exec_lo
	s_and_b32 s1, vcc_lo, exec_lo
	s_delay_alu instid0(VALU_DEP_2) | instskip(SKIP_1) | instid1(VALU_DEP_1)
	v_mov_b32_e32 v0, v5
	s_or_b32 s4, s0, s1
	v_mad_u64_u32 v[1:2], null, v9, s7, v[0:1]
	v_dual_mov_b32 v2, s14 :: v_dual_mov_b32 v3, s15
	s_delay_alu instid0(VALU_DEP_2) | instskip(NEXT) | instid1(VALU_DEP_1)
	v_mov_b32_e32 v5, v1
	v_dual_mov_b32 v0, v4 :: v_dual_mov_b32 v1, v5
.LBB17_11:
	s_or_b32 exec_lo, exec_lo, s16
	s_delay_alu instid0(SALU_CYCLE_1)
	s_and_b32 exec_lo, exec_lo, s4
	s_cbranch_execz .LBB17_14
; %bb.12:
	s_delay_alu instid0(VALU_DEP_1) | instskip(SKIP_4) | instid1(VALU_DEP_2)
	v_add_co_u32 v4, vcc_lo, v0, s2
	v_add_co_ci_u32_e32 v5, vcc_lo, s3, v1, vcc_lo
	v_lshlrev_b64 v[6:7], 1, v[0:1]
	s_lshl_b64 s[0:1], s[2:3], 1
	s_mov_b32 s3, 0
	v_lshlrev_b64 v[4:5], 2, v[4:5]
	s_waitcnt lgkmcnt(0)
	s_add_u32 s0, s8, s0
	s_addc_u32 s1, s9, s1
	s_lshl_b32 s2, s7, 1
	s_delay_alu instid0(VALU_DEP_1) | instskip(SKIP_1) | instid1(VALU_DEP_2)
	v_add_co_u32 v4, vcc_lo, v4, s10
	v_add_co_ci_u32_e32 v5, vcc_lo, s11, v5, vcc_lo
	v_add_co_u32 v4, vcc_lo, v4, 2
	s_delay_alu instid0(VALU_DEP_2)
	v_add_co_ci_u32_e32 v5, vcc_lo, 0, v5, vcc_lo
	v_add_co_u32 v6, vcc_lo, s0, v6
	v_add_co_ci_u32_e32 v7, vcc_lo, s1, v7, vcc_lo
.LBB17_13:                              ; =>This Inner Loop Header: Depth=1
	global_load_b32 v8, v[4:5], off offset:-2
	v_add_co_u32 v0, vcc_lo, v0, s7
	v_add_co_ci_u32_e32 v1, vcc_lo, 0, v1, vcc_lo
	v_add_co_u32 v4, vcc_lo, v4, v2
	v_add_co_ci_u32_e32 v5, vcc_lo, v5, v3, vcc_lo
	s_delay_alu instid0(VALU_DEP_3) | instskip(NEXT) | instid1(VALU_DEP_1)
	v_cmp_le_i64_e64 s0, s[12:13], v[0:1]
	s_or_b32 s3, s0, s3
	s_waitcnt vmcnt(0)
	v_lshlrev_b32_e32 v9, 16, v8
	v_and_b32_e32 v8, 0xffff0000, v8
	s_delay_alu instid0(VALU_DEP_2) | instskip(NEXT) | instid1(VALU_DEP_2)
	v_cmp_lt_f32_e32 vcc_lo, s6, v9
	v_cmp_lt_f32_e64 s1, v8, -s6
	v_cndmask_b32_e64 v9, v9, s6, vcc_lo
	s_delay_alu instid0(VALU_DEP_2) | instskip(SKIP_1) | instid1(VALU_DEP_3)
	v_cndmask_b32_e64 v10, v8, -s6, s1
	v_cmp_lt_f32_e32 vcc_lo, s6, v8
	v_mul_f32_e64 v8, -v9, s5
	s_delay_alu instid0(VALU_DEP_3) | instskip(NEXT) | instid1(VALU_DEP_2)
	v_cndmask_b32_e64 v10, v10, s6, vcc_lo
	v_mul_f32_e32 v11, 0x3fb8aa3b, v8
	v_cmp_ngt_f32_e64 s1, 0xc2ce8ed0, v8
	s_delay_alu instid0(VALU_DEP_3) | instskip(NEXT) | instid1(VALU_DEP_3)
	v_add_f32_e32 v10, 1.0, v10
	v_fma_f32 v12, 0x3fb8aa3b, v8, -v11
	v_rndne_f32_e32 v13, v11
	s_delay_alu instid0(VALU_DEP_1) | instskip(NEXT) | instid1(VALU_DEP_1)
	v_dual_fmac_f32 v12, 0x32a5705f, v8 :: v_dual_sub_f32 v11, v11, v13
	v_add_f32_e32 v11, v11, v12
	v_cvt_i32_f32_e32 v12, v13
	s_delay_alu instid0(VALU_DEP_2) | instskip(SKIP_2) | instid1(VALU_DEP_1)
	v_exp_f32_e32 v11, v11
	s_waitcnt_depctr 0xfff
	v_ldexp_f32 v11, v11, v12
	v_cndmask_b32_e64 v11, 0, v11, s1
	v_cmp_nlt_f32_e64 s1, 0x42b17218, v8
	s_delay_alu instid0(VALU_DEP_1) | instskip(NEXT) | instid1(VALU_DEP_1)
	v_cndmask_b32_e64 v8, 0x7f800000, v11, s1
	v_add_f32_e32 v8, 1.0, v8
	s_delay_alu instid0(VALU_DEP_1) | instskip(SKIP_1) | instid1(VALU_DEP_2)
	v_div_scale_f32 v11, null, v8, v8, 1.0
	v_div_scale_f32 v13, vcc_lo, 1.0, v8, 1.0
	v_rcp_f32_e32 v12, v11
	s_waitcnt_depctr 0xfff
	v_fma_f32 v14, -v11, v12, 1.0
	s_delay_alu instid0(VALU_DEP_1) | instskip(NEXT) | instid1(VALU_DEP_1)
	v_fmac_f32_e32 v12, v14, v12
	v_mul_f32_e32 v14, v13, v12
	s_delay_alu instid0(VALU_DEP_1) | instskip(NEXT) | instid1(VALU_DEP_1)
	v_fma_f32 v15, -v11, v14, v13
	v_fmac_f32_e32 v14, v15, v12
	s_delay_alu instid0(VALU_DEP_1) | instskip(NEXT) | instid1(VALU_DEP_1)
	v_fma_f32 v11, -v11, v14, v13
	v_div_fmas_f32 v11, v11, v12, v14
	s_delay_alu instid0(VALU_DEP_1) | instskip(NEXT) | instid1(VALU_DEP_1)
	v_div_fixup_f32 v8, v11, v8, 1.0
	v_mul_f32_e32 v8, v9, v8
	s_delay_alu instid0(VALU_DEP_1) | instskip(NEXT) | instid1(VALU_DEP_1)
	v_mul_f32_e32 v8, v10, v8
	v_bfe_u32 v9, v8, 16, 1
	v_cmp_o_f32_e32 vcc_lo, v8, v8
	s_delay_alu instid0(VALU_DEP_2) | instskip(NEXT) | instid1(VALU_DEP_1)
	v_add3_u32 v9, v8, v9, 0x7fff
	v_lshrrev_b32_e32 v9, 16, v9
	s_delay_alu instid0(VALU_DEP_1)
	v_cndmask_b32_e32 v8, 0x7fc0, v9, vcc_lo
	global_store_b16 v[6:7], v8, off
	v_add_co_u32 v6, vcc_lo, v6, s2
	v_add_co_ci_u32_e32 v7, vcc_lo, 0, v7, vcc_lo
	s_and_not1_b32 exec_lo, exec_lo, s3
	s_cbranch_execnz .LBB17_13
.LBB17_14:
	s_nop 0
	s_sendmsg sendmsg(MSG_DEALLOC_VGPRS)
	s_endpgm
	.section	.rodata,"a",@progbits
	.p2align	6, 0x0
	.amdhsa_kernel _ZN4vllm24swigluoai_and_mul_kernelIN3c108BFloat16ETnPFT_RKS3_S5_ffEXadL_ZNS_17swigluoai_and_mulIS2_EES3_S5_S5_ffEEEEvPS3_PS4_iff
		.amdhsa_group_segment_fixed_size 0
		.amdhsa_private_segment_fixed_size 0
		.amdhsa_kernarg_size 288
		.amdhsa_user_sgpr_count 15
		.amdhsa_user_sgpr_dispatch_ptr 0
		.amdhsa_user_sgpr_queue_ptr 0
		.amdhsa_user_sgpr_kernarg_segment_ptr 1
		.amdhsa_user_sgpr_dispatch_id 0
		.amdhsa_user_sgpr_private_segment_size 0
		.amdhsa_wavefront_size32 1
		.amdhsa_uses_dynamic_stack 0
		.amdhsa_enable_private_segment 0
		.amdhsa_system_sgpr_workgroup_id_x 1
		.amdhsa_system_sgpr_workgroup_id_y 0
		.amdhsa_system_sgpr_workgroup_id_z 0
		.amdhsa_system_sgpr_workgroup_info 0
		.amdhsa_system_vgpr_workitem_id 0
		.amdhsa_next_free_vgpr 30
		.amdhsa_next_free_sgpr 24
		.amdhsa_reserve_vcc 1
		.amdhsa_float_round_mode_32 0
		.amdhsa_float_round_mode_16_64 0
		.amdhsa_float_denorm_mode_32 3
		.amdhsa_float_denorm_mode_16_64 3
		.amdhsa_dx10_clamp 1
		.amdhsa_ieee_mode 1
		.amdhsa_fp16_overflow 0
		.amdhsa_workgroup_processor_mode 1
		.amdhsa_memory_ordered 1
		.amdhsa_forward_progress 0
		.amdhsa_shared_vgpr_count 0
		.amdhsa_exception_fp_ieee_invalid_op 0
		.amdhsa_exception_fp_denorm_src 0
		.amdhsa_exception_fp_ieee_div_zero 0
		.amdhsa_exception_fp_ieee_overflow 0
		.amdhsa_exception_fp_ieee_underflow 0
		.amdhsa_exception_fp_ieee_inexact 0
		.amdhsa_exception_int_div_zero 0
	.end_amdhsa_kernel
	.section	.text._ZN4vllm24swigluoai_and_mul_kernelIN3c108BFloat16ETnPFT_RKS3_S5_ffEXadL_ZNS_17swigluoai_and_mulIS2_EES3_S5_S5_ffEEEEvPS3_PS4_iff,"axG",@progbits,_ZN4vllm24swigluoai_and_mul_kernelIN3c108BFloat16ETnPFT_RKS3_S5_ffEXadL_ZNS_17swigluoai_and_mulIS2_EES3_S5_S5_ffEEEEvPS3_PS4_iff,comdat
.Lfunc_end17:
	.size	_ZN4vllm24swigluoai_and_mul_kernelIN3c108BFloat16ETnPFT_RKS3_S5_ffEXadL_ZNS_17swigluoai_and_mulIS2_EES3_S5_S5_ffEEEEvPS3_PS4_iff, .Lfunc_end17-_ZN4vllm24swigluoai_and_mul_kernelIN3c108BFloat16ETnPFT_RKS3_S5_ffEXadL_ZNS_17swigluoai_and_mulIS2_EES3_S5_S5_ffEEEEvPS3_PS4_iff
                                        ; -- End function
	.section	.AMDGPU.csdata,"",@progbits
; Kernel info:
; codeLenInByte = 2832
; NumSgprs: 26
; NumVgprs: 30
; ScratchSize: 0
; MemoryBound: 0
; FloatMode: 240
; IeeeMode: 1
; LDSByteSize: 0 bytes/workgroup (compile time only)
; SGPRBlocks: 3
; VGPRBlocks: 3
; NumSGPRsForWavesPerEU: 26
; NumVGPRsForWavesPerEU: 30
; Occupancy: 16
; WaveLimiterHint : 0
; COMPUTE_PGM_RSRC2:SCRATCH_EN: 0
; COMPUTE_PGM_RSRC2:USER_SGPR: 15
; COMPUTE_PGM_RSRC2:TRAP_HANDLER: 0
; COMPUTE_PGM_RSRC2:TGID_X_EN: 1
; COMPUTE_PGM_RSRC2:TGID_Y_EN: 0
; COMPUTE_PGM_RSRC2:TGID_Z_EN: 0
; COMPUTE_PGM_RSRC2:TIDIG_COMP_CNT: 0
	.section	.text._ZN4vllm17activation_kernelIfTnPFT_RKS1_EXadL_ZNS_15gelu_new_kernelIfEES1_S3_EEEEvPS1_PS2_i,"axG",@progbits,_ZN4vllm17activation_kernelIfTnPFT_RKS1_EXadL_ZNS_15gelu_new_kernelIfEES1_S3_EEEEvPS1_PS2_i,comdat
	.protected	_ZN4vllm17activation_kernelIfTnPFT_RKS1_EXadL_ZNS_15gelu_new_kernelIfEES1_S3_EEEEvPS1_PS2_i ; -- Begin function _ZN4vllm17activation_kernelIfTnPFT_RKS1_EXadL_ZNS_15gelu_new_kernelIfEES1_S3_EEEEvPS1_PS2_i
	.globl	_ZN4vllm17activation_kernelIfTnPFT_RKS1_EXadL_ZNS_15gelu_new_kernelIfEES1_S3_EEEEvPS1_PS2_i
	.p2align	8
	.type	_ZN4vllm17activation_kernelIfTnPFT_RKS1_EXadL_ZNS_15gelu_new_kernelIfEES1_S3_EEEEvPS1_PS2_i,@function
_ZN4vllm17activation_kernelIfTnPFT_RKS1_EXadL_ZNS_15gelu_new_kernelIfEES1_S3_EEEEvPS1_PS2_i: ; @_ZN4vllm17activation_kernelIfTnPFT_RKS1_EXadL_ZNS_15gelu_new_kernelIfEES1_S3_EEEEvPS1_PS2_i
; %bb.0:
	s_load_b32 s2, s[0:1], 0x10
	s_mov_b32 s3, exec_lo
	s_waitcnt lgkmcnt(0)
	v_cmpx_gt_i32_e64 s2, v0
	s_cbranch_execz .LBB18_7
; %bb.1:
	v_mov_b32_e32 v1, 0
	s_clause 0x1
	s_load_b32 s8, s[0:1], 0x24
	s_load_b128 s[4:7], s[0:1], 0x0
	s_ashr_i32 s3, s2, 31
	s_mov_b32 s10, 0xbbbac73d
	v_mad_u64_u32 v[2:3], null, s2, s15, v[0:1]
	s_delay_alu instid0(VALU_DEP_1) | instskip(SKIP_2) | instid1(VALU_DEP_1)
	v_mad_u64_u32 v[4:5], null, s3, s15, v[3:4]
	s_waitcnt lgkmcnt(0)
	s_and_b32 s1, s8, 0xffff
	v_mov_b32_e32 v3, v4
	s_mov_b32 s8, 0
	s_lshl_b32 s9, s1, 2
	s_delay_alu instid0(VALU_DEP_1)
	v_lshlrev_b64 v[2:3], 2, v[2:3]
	s_branch .LBB18_3
.LBB18_2:                               ;   in Loop: Header=BB18_3 Depth=1
	s_or_b32 exec_lo, exec_lo, s0
	s_waitcnt_depctr 0xfff
	v_bfi_b32 v5, 0x7fffffff, v6, v5
	v_mul_f32_e32 v4, 0.5, v4
	v_add_co_u32 v0, vcc_lo, v0, s1
	v_add_co_ci_u32_e32 v1, vcc_lo, 0, v1, vcc_lo
	s_delay_alu instid0(VALU_DEP_4) | instskip(NEXT) | instid1(VALU_DEP_1)
	v_add_f32_e32 v5, 1.0, v5
	v_mul_f32_e32 v6, v4, v5
	v_add_co_u32 v4, vcc_lo, s4, v2
	v_add_co_ci_u32_e32 v5, vcc_lo, s5, v3, vcc_lo
	v_cmp_le_i64_e32 vcc_lo, s[2:3], v[0:1]
	v_add_co_u32 v2, s0, v2, s9
	s_delay_alu instid0(VALU_DEP_1) | instskip(SKIP_2) | instid1(SALU_CYCLE_1)
	v_add_co_ci_u32_e64 v3, s0, 0, v3, s0
	global_store_b32 v[4:5], v6, off
	s_or_b32 s8, vcc_lo, s8
	s_and_not1_b32 exec_lo, exec_lo, s8
	s_cbranch_execz .LBB18_7
.LBB18_3:                               ; =>This Inner Loop Header: Depth=1
	s_delay_alu instid0(VALU_DEP_1) | instskip(NEXT) | instid1(VALU_DEP_2)
	v_add_co_u32 v4, vcc_lo, s6, v2
	v_add_co_ci_u32_e32 v5, vcc_lo, s7, v3, vcc_lo
                                        ; implicit-def: $vgpr6
	global_load_b32 v4, v[4:5], off
	s_waitcnt vmcnt(0)
	v_mul_f32_e32 v5, v4, v4
	s_delay_alu instid0(VALU_DEP_1) | instskip(NEXT) | instid1(VALU_DEP_1)
	v_mul_f32_e32 v5, v4, v5
	v_fmamk_f32 v5, v5, 0x3d372713, v4
	s_delay_alu instid0(VALU_DEP_1) | instskip(NEXT) | instid1(VALU_DEP_1)
	v_mul_f32_e32 v5, 0x3f4c422a, v5
	v_cmp_ngt_f32_e64 s0, 0x3f200000, |v5|
	s_delay_alu instid0(VALU_DEP_1) | instskip(NEXT) | instid1(SALU_CYCLE_1)
	s_and_saveexec_b32 s11, s0
	s_xor_b32 s0, exec_lo, s11
	s_cbranch_execz .LBB18_5
; %bb.4:                                ;   in Loop: Header=BB18_3 Depth=1
	v_add_f32_e64 v6, |v5|, |v5|
	s_delay_alu instid0(VALU_DEP_1) | instskip(SKIP_1) | instid1(VALU_DEP_2)
	v_mul_f32_e32 v7, 0x3fb8aa3b, v6
	v_cmp_ngt_f32_e32 vcc_lo, 0xc2ce8ed0, v6
	v_rndne_f32_e32 v8, v7
	v_fma_f32 v9, 0x3fb8aa3b, v6, -v7
	s_delay_alu instid0(VALU_DEP_2) | instskip(NEXT) | instid1(VALU_DEP_2)
	v_sub_f32_e32 v7, v7, v8
	v_fmac_f32_e32 v9, 0x32a5705f, v6
	v_cvt_i32_f32_e32 v8, v8
	s_delay_alu instid0(VALU_DEP_2) | instskip(NEXT) | instid1(VALU_DEP_1)
	v_add_f32_e32 v7, v7, v9
	v_exp_f32_e32 v7, v7
	s_waitcnt_depctr 0xfff
	v_ldexp_f32 v7, v7, v8
	s_delay_alu instid0(VALU_DEP_1) | instskip(SKIP_1) | instid1(VALU_DEP_2)
	v_cndmask_b32_e32 v7, 0, v7, vcc_lo
	v_cmp_nlt_f32_e32 vcc_lo, 0x42b17218, v6
	v_cndmask_b32_e32 v6, 0x7f800000, v7, vcc_lo
	s_delay_alu instid0(VALU_DEP_1) | instskip(NEXT) | instid1(VALU_DEP_1)
	v_add_f32_e32 v6, 1.0, v6
	v_rcp_f32_e32 v6, v6
	s_waitcnt_depctr 0xfff
	v_fma_f32 v6, v6, -2.0, 1.0
.LBB18_5:                               ;   in Loop: Header=BB18_3 Depth=1
	s_and_not1_saveexec_b32 s0, s0
	s_cbranch_execz .LBB18_2
; %bb.6:                                ;   in Loop: Header=BB18_3 Depth=1
	v_mul_f32_e32 v6, v5, v5
	s_delay_alu instid0(VALU_DEP_1) | instskip(NEXT) | instid1(VALU_DEP_1)
	v_fmaak_f32 v7, s10, v6, 0x3ca908c9
	v_fmaak_f32 v7, v6, v7, 0xbd5c1c4e
	s_delay_alu instid0(VALU_DEP_1) | instskip(NEXT) | instid1(VALU_DEP_1)
	v_fmaak_f32 v7, v6, v7, 0x3e088382
	v_fmaak_f32 v7, v6, v7, 0xbeaaaa99
	s_delay_alu instid0(VALU_DEP_1) | instskip(NEXT) | instid1(VALU_DEP_1)
	v_mul_f32_e64 v7, |v5|, v7
	v_fma_f32 v6, v6, v7, |v5|
	s_branch .LBB18_2
.LBB18_7:
	s_nop 0
	s_sendmsg sendmsg(MSG_DEALLOC_VGPRS)
	s_endpgm
	.section	.rodata,"a",@progbits
	.p2align	6, 0x0
	.amdhsa_kernel _ZN4vllm17activation_kernelIfTnPFT_RKS1_EXadL_ZNS_15gelu_new_kernelIfEES1_S3_EEEEvPS1_PS2_i
		.amdhsa_group_segment_fixed_size 0
		.amdhsa_private_segment_fixed_size 0
		.amdhsa_kernarg_size 280
		.amdhsa_user_sgpr_count 15
		.amdhsa_user_sgpr_dispatch_ptr 0
		.amdhsa_user_sgpr_queue_ptr 0
		.amdhsa_user_sgpr_kernarg_segment_ptr 1
		.amdhsa_user_sgpr_dispatch_id 0
		.amdhsa_user_sgpr_private_segment_size 0
		.amdhsa_wavefront_size32 1
		.amdhsa_uses_dynamic_stack 0
		.amdhsa_enable_private_segment 0
		.amdhsa_system_sgpr_workgroup_id_x 1
		.amdhsa_system_sgpr_workgroup_id_y 0
		.amdhsa_system_sgpr_workgroup_id_z 0
		.amdhsa_system_sgpr_workgroup_info 0
		.amdhsa_system_vgpr_workitem_id 0
		.amdhsa_next_free_vgpr 10
		.amdhsa_next_free_sgpr 16
		.amdhsa_reserve_vcc 1
		.amdhsa_float_round_mode_32 0
		.amdhsa_float_round_mode_16_64 0
		.amdhsa_float_denorm_mode_32 3
		.amdhsa_float_denorm_mode_16_64 3
		.amdhsa_dx10_clamp 1
		.amdhsa_ieee_mode 1
		.amdhsa_fp16_overflow 0
		.amdhsa_workgroup_processor_mode 1
		.amdhsa_memory_ordered 1
		.amdhsa_forward_progress 0
		.amdhsa_shared_vgpr_count 0
		.amdhsa_exception_fp_ieee_invalid_op 0
		.amdhsa_exception_fp_denorm_src 0
		.amdhsa_exception_fp_ieee_div_zero 0
		.amdhsa_exception_fp_ieee_overflow 0
		.amdhsa_exception_fp_ieee_underflow 0
		.amdhsa_exception_fp_ieee_inexact 0
		.amdhsa_exception_int_div_zero 0
	.end_amdhsa_kernel
	.section	.text._ZN4vllm17activation_kernelIfTnPFT_RKS1_EXadL_ZNS_15gelu_new_kernelIfEES1_S3_EEEEvPS1_PS2_i,"axG",@progbits,_ZN4vllm17activation_kernelIfTnPFT_RKS1_EXadL_ZNS_15gelu_new_kernelIfEES1_S3_EEEEvPS1_PS2_i,comdat
.Lfunc_end18:
	.size	_ZN4vllm17activation_kernelIfTnPFT_RKS1_EXadL_ZNS_15gelu_new_kernelIfEES1_S3_EEEEvPS1_PS2_i, .Lfunc_end18-_ZN4vllm17activation_kernelIfTnPFT_RKS1_EXadL_ZNS_15gelu_new_kernelIfEES1_S3_EEEEvPS1_PS2_i
                                        ; -- End function
	.section	.AMDGPU.csdata,"",@progbits
; Kernel info:
; codeLenInByte = 540
; NumSgprs: 18
; NumVgprs: 10
; ScratchSize: 0
; MemoryBound: 0
; FloatMode: 240
; IeeeMode: 1
; LDSByteSize: 0 bytes/workgroup (compile time only)
; SGPRBlocks: 2
; VGPRBlocks: 1
; NumSGPRsForWavesPerEU: 18
; NumVGPRsForWavesPerEU: 10
; Occupancy: 16
; WaveLimiterHint : 0
; COMPUTE_PGM_RSRC2:SCRATCH_EN: 0
; COMPUTE_PGM_RSRC2:USER_SGPR: 15
; COMPUTE_PGM_RSRC2:TRAP_HANDLER: 0
; COMPUTE_PGM_RSRC2:TGID_X_EN: 1
; COMPUTE_PGM_RSRC2:TGID_Y_EN: 0
; COMPUTE_PGM_RSRC2:TGID_Z_EN: 0
; COMPUTE_PGM_RSRC2:TIDIG_COMP_CNT: 0
	.section	.text._ZN4vllm17activation_kernelIN3c104HalfETnPFT_RKS3_EXadL_ZNS_15gelu_new_kernelIS2_EES3_S5_EEEEvPS3_PS4_i,"axG",@progbits,_ZN4vllm17activation_kernelIN3c104HalfETnPFT_RKS3_EXadL_ZNS_15gelu_new_kernelIS2_EES3_S5_EEEEvPS3_PS4_i,comdat
	.protected	_ZN4vllm17activation_kernelIN3c104HalfETnPFT_RKS3_EXadL_ZNS_15gelu_new_kernelIS2_EES3_S5_EEEEvPS3_PS4_i ; -- Begin function _ZN4vllm17activation_kernelIN3c104HalfETnPFT_RKS3_EXadL_ZNS_15gelu_new_kernelIS2_EES3_S5_EEEEvPS3_PS4_i
	.globl	_ZN4vllm17activation_kernelIN3c104HalfETnPFT_RKS3_EXadL_ZNS_15gelu_new_kernelIS2_EES3_S5_EEEEvPS3_PS4_i
	.p2align	8
	.type	_ZN4vllm17activation_kernelIN3c104HalfETnPFT_RKS3_EXadL_ZNS_15gelu_new_kernelIS2_EES3_S5_EEEEvPS3_PS4_i,@function
_ZN4vllm17activation_kernelIN3c104HalfETnPFT_RKS3_EXadL_ZNS_15gelu_new_kernelIS2_EES3_S5_EEEEvPS3_PS4_i: ; @_ZN4vllm17activation_kernelIN3c104HalfETnPFT_RKS3_EXadL_ZNS_15gelu_new_kernelIS2_EES3_S5_EEEEvPS3_PS4_i
; %bb.0:
	s_load_b32 s2, s[0:1], 0x10
	s_mov_b32 s3, exec_lo
	s_waitcnt lgkmcnt(0)
	v_cmpx_gt_i32_e64 s2, v0
	s_cbranch_execz .LBB19_7
; %bb.1:
	v_mov_b32_e32 v1, 0
	s_clause 0x1
	s_load_b32 s8, s[0:1], 0x24
	s_load_b128 s[4:7], s[0:1], 0x0
	s_ashr_i32 s3, s2, 31
	s_mov_b32 s1, 0
	s_mov_b32 s10, 0x3d372713
	v_mad_u64_u32 v[2:3], null, s2, s15, v[0:1]
	s_mov_b32 s11, 0x3f4c422a
	s_mov_b32 s12, 0xbbbac73d
	s_delay_alu instid0(VALU_DEP_1) | instskip(SKIP_2) | instid1(VALU_DEP_1)
	v_mad_u64_u32 v[4:5], null, s3, s15, v[3:4]
	s_waitcnt lgkmcnt(0)
	s_and_b32 s8, s8, 0xffff
	v_mov_b32_e32 v3, v4
	s_lshl_b32 s9, s8, 1
	s_delay_alu instid0(VALU_DEP_1)
	v_lshlrev_b64 v[2:3], 1, v[2:3]
	s_branch .LBB19_3
.LBB19_2:                               ;   in Loop: Header=BB19_3 Depth=1
	s_or_b32 exec_lo, exec_lo, s0
	s_waitcnt_depctr 0xfff
	v_cvt_f16_f32_e32 v6, v6
	v_lshrrev_b32_e32 v5, 16, v5
	v_mul_f16_e32 v7, 0.5, v4
	v_add_co_u32 v0, vcc_lo, v0, s8
	v_add_co_ci_u32_e32 v1, vcc_lo, 0, v1, vcc_lo
	s_delay_alu instid0(VALU_DEP_4) | instskip(NEXT) | instid1(VALU_DEP_1)
	v_bfi_b32 v4, 0x7fff, v6, v5
	v_add_f16_e32 v6, 1.0, v4
	v_add_co_u32 v4, vcc_lo, s4, v2
	v_add_co_ci_u32_e32 v5, vcc_lo, s5, v3, vcc_lo
	v_cmp_le_i64_e32 vcc_lo, s[2:3], v[0:1]
	v_add_co_u32 v2, s0, v2, s9
	v_mul_f16_e32 v6, v7, v6
	v_add_co_ci_u32_e64 v3, s0, 0, v3, s0
	s_or_b32 s1, vcc_lo, s1
	global_store_b16 v[4:5], v6, off
	s_and_not1_b32 exec_lo, exec_lo, s1
	s_cbranch_execz .LBB19_7
.LBB19_3:                               ; =>This Inner Loop Header: Depth=1
	s_delay_alu instid0(VALU_DEP_1) | instskip(NEXT) | instid1(VALU_DEP_2)
	v_add_co_u32 v4, vcc_lo, s6, v2
	v_add_co_ci_u32_e32 v5, vcc_lo, s7, v3, vcc_lo
                                        ; implicit-def: $vgpr6
	global_load_u16 v4, v[4:5], off
	s_waitcnt vmcnt(0)
	v_mul_f16_e32 v5, v4, v4
	s_delay_alu instid0(VALU_DEP_1) | instskip(NEXT) | instid1(VALU_DEP_1)
	v_mul_f16_e32 v5, v4, v5
	v_fma_mixlo_f16 v5, v5, s10, 0 op_sel_hi:[1,0,0]
	s_delay_alu instid0(VALU_DEP_1) | instskip(NEXT) | instid1(VALU_DEP_1)
	v_add_f16_e32 v5, v4, v5
	v_fma_mixlo_f16 v5, v5, s11, 0 op_sel_hi:[1,0,0]
	s_delay_alu instid0(VALU_DEP_1) | instskip(NEXT) | instid1(VALU_DEP_1)
	v_cvt_f32_f16_e32 v5, v5
	v_cmp_ngt_f32_e64 s0, 0x3f200000, |v5|
	s_delay_alu instid0(VALU_DEP_1) | instskip(NEXT) | instid1(SALU_CYCLE_1)
	s_and_saveexec_b32 s13, s0
	s_xor_b32 s0, exec_lo, s13
	s_cbranch_execz .LBB19_5
; %bb.4:                                ;   in Loop: Header=BB19_3 Depth=1
	v_add_f32_e64 v6, |v5|, |v5|
	s_delay_alu instid0(VALU_DEP_1) | instskip(SKIP_1) | instid1(VALU_DEP_2)
	v_mul_f32_e32 v7, 0x3fb8aa3b, v6
	v_cmp_ngt_f32_e32 vcc_lo, 0xc2ce8ed0, v6
	v_rndne_f32_e32 v8, v7
	v_fma_f32 v9, 0x3fb8aa3b, v6, -v7
	s_delay_alu instid0(VALU_DEP_2) | instskip(NEXT) | instid1(VALU_DEP_2)
	v_sub_f32_e32 v7, v7, v8
	v_fmac_f32_e32 v9, 0x32a5705f, v6
	v_cvt_i32_f32_e32 v8, v8
	s_delay_alu instid0(VALU_DEP_2) | instskip(NEXT) | instid1(VALU_DEP_1)
	v_add_f32_e32 v7, v7, v9
	v_exp_f32_e32 v7, v7
	s_waitcnt_depctr 0xfff
	v_ldexp_f32 v7, v7, v8
	s_delay_alu instid0(VALU_DEP_1) | instskip(SKIP_1) | instid1(VALU_DEP_2)
	v_cndmask_b32_e32 v7, 0, v7, vcc_lo
	v_cmp_nlt_f32_e32 vcc_lo, 0x42b17218, v6
	v_cndmask_b32_e32 v6, 0x7f800000, v7, vcc_lo
	s_delay_alu instid0(VALU_DEP_1) | instskip(NEXT) | instid1(VALU_DEP_1)
	v_add_f32_e32 v6, 1.0, v6
	v_rcp_f32_e32 v6, v6
	s_waitcnt_depctr 0xfff
	v_fma_f32 v6, v6, -2.0, 1.0
.LBB19_5:                               ;   in Loop: Header=BB19_3 Depth=1
	s_and_not1_saveexec_b32 s0, s0
	s_cbranch_execz .LBB19_2
; %bb.6:                                ;   in Loop: Header=BB19_3 Depth=1
	v_mul_f32_e32 v6, v5, v5
	s_delay_alu instid0(VALU_DEP_1) | instskip(NEXT) | instid1(VALU_DEP_1)
	v_fmaak_f32 v7, s12, v6, 0x3ca908c9
	v_fmaak_f32 v7, v6, v7, 0xbd5c1c4e
	s_delay_alu instid0(VALU_DEP_1) | instskip(NEXT) | instid1(VALU_DEP_1)
	v_fmaak_f32 v7, v6, v7, 0x3e088382
	v_fmaak_f32 v7, v6, v7, 0xbeaaaa99
	s_delay_alu instid0(VALU_DEP_1) | instskip(NEXT) | instid1(VALU_DEP_1)
	v_mul_f32_e64 v7, |v5|, v7
	v_fma_f32 v6, v6, v7, |v5|
	s_branch .LBB19_2
.LBB19_7:
	s_nop 0
	s_sendmsg sendmsg(MSG_DEALLOC_VGPRS)
	s_endpgm
	.section	.rodata,"a",@progbits
	.p2align	6, 0x0
	.amdhsa_kernel _ZN4vllm17activation_kernelIN3c104HalfETnPFT_RKS3_EXadL_ZNS_15gelu_new_kernelIS2_EES3_S5_EEEEvPS3_PS4_i
		.amdhsa_group_segment_fixed_size 0
		.amdhsa_private_segment_fixed_size 0
		.amdhsa_kernarg_size 280
		.amdhsa_user_sgpr_count 15
		.amdhsa_user_sgpr_dispatch_ptr 0
		.amdhsa_user_sgpr_queue_ptr 0
		.amdhsa_user_sgpr_kernarg_segment_ptr 1
		.amdhsa_user_sgpr_dispatch_id 0
		.amdhsa_user_sgpr_private_segment_size 0
		.amdhsa_wavefront_size32 1
		.amdhsa_uses_dynamic_stack 0
		.amdhsa_enable_private_segment 0
		.amdhsa_system_sgpr_workgroup_id_x 1
		.amdhsa_system_sgpr_workgroup_id_y 0
		.amdhsa_system_sgpr_workgroup_id_z 0
		.amdhsa_system_sgpr_workgroup_info 0
		.amdhsa_system_vgpr_workitem_id 0
		.amdhsa_next_free_vgpr 10
		.amdhsa_next_free_sgpr 16
		.amdhsa_reserve_vcc 1
		.amdhsa_float_round_mode_32 0
		.amdhsa_float_round_mode_16_64 0
		.amdhsa_float_denorm_mode_32 3
		.amdhsa_float_denorm_mode_16_64 3
		.amdhsa_dx10_clamp 1
		.amdhsa_ieee_mode 1
		.amdhsa_fp16_overflow 0
		.amdhsa_workgroup_processor_mode 1
		.amdhsa_memory_ordered 1
		.amdhsa_forward_progress 0
		.amdhsa_shared_vgpr_count 0
		.amdhsa_exception_fp_ieee_invalid_op 0
		.amdhsa_exception_fp_denorm_src 0
		.amdhsa_exception_fp_ieee_div_zero 0
		.amdhsa_exception_fp_ieee_overflow 0
		.amdhsa_exception_fp_ieee_underflow 0
		.amdhsa_exception_fp_ieee_inexact 0
		.amdhsa_exception_int_div_zero 0
	.end_amdhsa_kernel
	.section	.text._ZN4vllm17activation_kernelIN3c104HalfETnPFT_RKS3_EXadL_ZNS_15gelu_new_kernelIS2_EES3_S5_EEEEvPS3_PS4_i,"axG",@progbits,_ZN4vllm17activation_kernelIN3c104HalfETnPFT_RKS3_EXadL_ZNS_15gelu_new_kernelIS2_EES3_S5_EEEEvPS3_PS4_i,comdat
.Lfunc_end19:
	.size	_ZN4vllm17activation_kernelIN3c104HalfETnPFT_RKS3_EXadL_ZNS_15gelu_new_kernelIS2_EES3_S5_EEEEvPS3_PS4_i, .Lfunc_end19-_ZN4vllm17activation_kernelIN3c104HalfETnPFT_RKS3_EXadL_ZNS_15gelu_new_kernelIS2_EES3_S5_EEEEvPS3_PS4_i
                                        ; -- End function
	.section	.AMDGPU.csdata,"",@progbits
; Kernel info:
; codeLenInByte = 572
; NumSgprs: 18
; NumVgprs: 10
; ScratchSize: 0
; MemoryBound: 0
; FloatMode: 240
; IeeeMode: 1
; LDSByteSize: 0 bytes/workgroup (compile time only)
; SGPRBlocks: 2
; VGPRBlocks: 1
; NumSGPRsForWavesPerEU: 18
; NumVGPRsForWavesPerEU: 10
; Occupancy: 16
; WaveLimiterHint : 0
; COMPUTE_PGM_RSRC2:SCRATCH_EN: 0
; COMPUTE_PGM_RSRC2:USER_SGPR: 15
; COMPUTE_PGM_RSRC2:TRAP_HANDLER: 0
; COMPUTE_PGM_RSRC2:TGID_X_EN: 1
; COMPUTE_PGM_RSRC2:TGID_Y_EN: 0
; COMPUTE_PGM_RSRC2:TGID_Z_EN: 0
; COMPUTE_PGM_RSRC2:TIDIG_COMP_CNT: 0
	.section	.text._ZN4vllm17activation_kernelIN3c108BFloat16ETnPFT_RKS3_EXadL_ZNS_15gelu_new_kernelIS2_EES3_S5_EEEEvPS3_PS4_i,"axG",@progbits,_ZN4vllm17activation_kernelIN3c108BFloat16ETnPFT_RKS3_EXadL_ZNS_15gelu_new_kernelIS2_EES3_S5_EEEEvPS3_PS4_i,comdat
	.protected	_ZN4vllm17activation_kernelIN3c108BFloat16ETnPFT_RKS3_EXadL_ZNS_15gelu_new_kernelIS2_EES3_S5_EEEEvPS3_PS4_i ; -- Begin function _ZN4vllm17activation_kernelIN3c108BFloat16ETnPFT_RKS3_EXadL_ZNS_15gelu_new_kernelIS2_EES3_S5_EEEEvPS3_PS4_i
	.globl	_ZN4vllm17activation_kernelIN3c108BFloat16ETnPFT_RKS3_EXadL_ZNS_15gelu_new_kernelIS2_EES3_S5_EEEEvPS3_PS4_i
	.p2align	8
	.type	_ZN4vllm17activation_kernelIN3c108BFloat16ETnPFT_RKS3_EXadL_ZNS_15gelu_new_kernelIS2_EES3_S5_EEEEvPS3_PS4_i,@function
_ZN4vllm17activation_kernelIN3c108BFloat16ETnPFT_RKS3_EXadL_ZNS_15gelu_new_kernelIS2_EES3_S5_EEEEvPS3_PS4_i: ; @_ZN4vllm17activation_kernelIN3c108BFloat16ETnPFT_RKS3_EXadL_ZNS_15gelu_new_kernelIS2_EES3_S5_EEEEvPS3_PS4_i
; %bb.0:
	s_load_b32 s2, s[0:1], 0x10
	s_mov_b32 s3, exec_lo
	s_waitcnt lgkmcnt(0)
	v_cmpx_gt_i32_e64 s2, v0
	s_cbranch_execz .LBB20_7
; %bb.1:
	v_mov_b32_e32 v1, 0
	s_clause 0x1
	s_load_b32 s8, s[0:1], 0x24
	s_load_b128 s[4:7], s[0:1], 0x0
	s_ashr_i32 s3, s2, 31
	s_mov_b32 s10, 0xbbbac73d
	v_mad_u64_u32 v[2:3], null, s2, s15, v[0:1]
	s_delay_alu instid0(VALU_DEP_1) | instskip(SKIP_2) | instid1(VALU_DEP_1)
	v_mad_u64_u32 v[4:5], null, s3, s15, v[3:4]
	s_waitcnt lgkmcnt(0)
	s_and_b32 s1, s8, 0xffff
	v_mov_b32_e32 v3, v4
	s_mov_b32 s8, 0
	s_lshl_b32 s9, s1, 1
	s_delay_alu instid0(VALU_DEP_1)
	v_lshlrev_b64 v[2:3], 1, v[2:3]
	s_branch .LBB20_3
.LBB20_2:                               ;   in Loop: Header=BB20_3 Depth=1
	s_or_b32 exec_lo, exec_lo, s0
	s_waitcnt_depctr 0xfff
	v_bfi_b32 v5, 0x7fffffff, v6, v5
	s_delay_alu instid0(VALU_DEP_1) | instskip(SKIP_1) | instid1(VALU_DEP_2)
	v_bfe_u32 v6, v5, 16, 1
	v_cmp_o_f32_e32 vcc_lo, v5, v5
	v_add3_u32 v6, v5, v6, 0x7fff
	s_delay_alu instid0(VALU_DEP_1) | instskip(NEXT) | instid1(VALU_DEP_1)
	v_and_b32_e32 v6, 0xffff0000, v6
	v_add_f32_e32 v6, 1.0, v6
	s_delay_alu instid0(VALU_DEP_1) | instskip(NEXT) | instid1(VALU_DEP_1)
	v_dual_mul_f32 v4, 0.5, v4 :: v_dual_cndmask_b32 v5, 0x7fc00000, v6
	v_bfe_u32 v6, v4, 16, 1
	v_cmp_o_f32_e32 vcc_lo, v4, v4
	s_delay_alu instid0(VALU_DEP_3) | instskip(NEXT) | instid1(VALU_DEP_3)
	v_bfe_u32 v7, v5, 16, 1
	v_add3_u32 v6, v4, v6, 0x7fff
	s_delay_alu instid0(VALU_DEP_2) | instskip(NEXT) | instid1(VALU_DEP_2)
	v_add3_u32 v7, v5, v7, 0x7fff
	v_and_b32_e32 v6, 0xffff0000, v6
	s_delay_alu instid0(VALU_DEP_2) | instskip(NEXT) | instid1(VALU_DEP_2)
	v_and_b32_e32 v7, 0xffff0000, v7
	v_cndmask_b32_e32 v4, 0x7fc00000, v6, vcc_lo
	v_cmp_o_f32_e32 vcc_lo, v5, v5
	s_delay_alu instid0(VALU_DEP_3) | instskip(SKIP_2) | instid1(VALU_DEP_3)
	v_cndmask_b32_e32 v5, 0x7fc00000, v7, vcc_lo
	v_add_co_u32 v0, vcc_lo, v0, s1
	v_add_co_ci_u32_e32 v1, vcc_lo, 0, v1, vcc_lo
	v_mul_f32_e32 v6, v4, v5
	s_delay_alu instid0(VALU_DEP_1) | instskip(SKIP_1) | instid1(VALU_DEP_2)
	v_bfe_u32 v4, v6, 16, 1
	v_cmp_o_f32_e64 s0, v6, v6
	v_add3_u32 v4, v6, v4, 0x7fff
	s_delay_alu instid0(VALU_DEP_1) | instskip(SKIP_3) | instid1(VALU_DEP_4)
	v_lshrrev_b32_e32 v7, 16, v4
	v_add_co_u32 v4, vcc_lo, s4, v2
	v_add_co_ci_u32_e32 v5, vcc_lo, s5, v3, vcc_lo
	v_cmp_le_i64_e32 vcc_lo, s[2:3], v[0:1]
	v_cndmask_b32_e64 v6, 0x7fc0, v7, s0
	v_add_co_u32 v2, s0, v2, s9
	s_delay_alu instid0(VALU_DEP_1)
	v_add_co_ci_u32_e64 v3, s0, 0, v3, s0
	s_or_b32 s8, vcc_lo, s8
	global_store_b16 v[4:5], v6, off
	s_and_not1_b32 exec_lo, exec_lo, s8
	s_cbranch_execz .LBB20_7
.LBB20_3:                               ; =>This Inner Loop Header: Depth=1
	s_delay_alu instid0(VALU_DEP_1) | instskip(NEXT) | instid1(VALU_DEP_2)
	v_add_co_u32 v4, vcc_lo, s6, v2
	v_add_co_ci_u32_e32 v5, vcc_lo, s7, v3, vcc_lo
	s_mov_b32 s11, exec_lo
	global_load_u16 v4, v[4:5], off
	s_waitcnt vmcnt(0)
	v_lshlrev_b32_e32 v4, 16, v4
	s_delay_alu instid0(VALU_DEP_1) | instskip(NEXT) | instid1(VALU_DEP_1)
	v_mul_f32_e32 v5, v4, v4
	v_bfe_u32 v6, v5, 16, 1
	s_delay_alu instid0(VALU_DEP_1) | instskip(NEXT) | instid1(VALU_DEP_1)
	v_add3_u32 v6, v5, v6, 0x7fff
	v_and_b32_e32 v6, 0xffff0000, v6
	v_cmp_o_f32_e32 vcc_lo, v5, v5
	s_delay_alu instid0(VALU_DEP_2) | instskip(NEXT) | instid1(VALU_DEP_1)
	v_cndmask_b32_e32 v5, 0x7fc00000, v6, vcc_lo
	v_mul_f32_e32 v5, v5, v4
	s_delay_alu instid0(VALU_DEP_1) | instskip(NEXT) | instid1(VALU_DEP_1)
	v_bfe_u32 v6, v5, 16, 1
	v_add3_u32 v6, v5, v6, 0x7fff
	s_delay_alu instid0(VALU_DEP_1) | instskip(SKIP_1) | instid1(VALU_DEP_2)
	v_and_b32_e32 v6, 0xffff0000, v6
	v_cmp_o_f32_e32 vcc_lo, v5, v5
	v_mul_f32_e32 v6, 0x3d372713, v6
	s_delay_alu instid0(VALU_DEP_1) | instskip(NEXT) | instid1(VALU_DEP_1)
	v_cndmask_b32_e32 v5, 0x7fc00000, v6, vcc_lo
	v_bfe_u32 v6, v5, 16, 1
	v_cmp_o_f32_e32 vcc_lo, v5, v5
	s_delay_alu instid0(VALU_DEP_2) | instskip(NEXT) | instid1(VALU_DEP_1)
	v_add3_u32 v6, v5, v6, 0x7fff
	v_and_b32_e32 v6, 0xffff0000, v6
	s_delay_alu instid0(VALU_DEP_1) | instskip(NEXT) | instid1(VALU_DEP_1)
	v_cndmask_b32_e32 v5, 0x7fc00000, v6, vcc_lo
	v_add_f32_e32 v5, v5, v4
	s_delay_alu instid0(VALU_DEP_1) | instskip(SKIP_1) | instid1(VALU_DEP_2)
	v_bfe_u32 v6, v5, 16, 1
	v_cmp_o_f32_e32 vcc_lo, v5, v5
	v_add3_u32 v6, v5, v6, 0x7fff
	s_delay_alu instid0(VALU_DEP_1) | instskip(NEXT) | instid1(VALU_DEP_1)
	v_and_b32_e32 v6, 0xffff0000, v6
	v_mul_f32_e32 v6, 0x3f4c422a, v6
	s_delay_alu instid0(VALU_DEP_1) | instskip(NEXT) | instid1(VALU_DEP_1)
	v_cndmask_b32_e32 v6, 0x7fc00000, v6, vcc_lo
	v_bfe_u32 v5, v6, 16, 1
	v_cmp_u_f32_e32 vcc_lo, v6, v6
	s_delay_alu instid0(VALU_DEP_2) | instskip(NEXT) | instid1(VALU_DEP_1)
	v_add3_u32 v5, v6, v5, 0x7fff
	v_and_b32_e32 v5, 0xffff0000, v5
	s_delay_alu instid0(VALU_DEP_1) | instskip(NEXT) | instid1(VALU_DEP_1)
	v_cndmask_b32_e64 v6, |v5|, 0x7fc00000, vcc_lo
	v_cmpx_ngt_f32_e32 0x3f200000, v6
	s_xor_b32 s11, exec_lo, s11
	s_cbranch_execz .LBB20_5
; %bb.4:                                ;   in Loop: Header=BB20_3 Depth=1
	v_add_f32_e32 v6, v6, v6
	s_delay_alu instid0(VALU_DEP_1) | instskip(NEXT) | instid1(VALU_DEP_1)
	v_mul_f32_e32 v7, 0x3fb8aa3b, v6
	v_rndne_f32_e32 v8, v7
	v_fma_f32 v9, 0x3fb8aa3b, v6, -v7
	s_delay_alu instid0(VALU_DEP_2) | instskip(NEXT) | instid1(VALU_DEP_2)
	v_sub_f32_e32 v7, v7, v8
	v_fmac_f32_e32 v9, 0x32a5705f, v6
	v_cvt_i32_f32_e32 v8, v8
	v_cmp_ngt_f32_e64 s0, 0xc2ce8ed0, v6
	s_delay_alu instid0(VALU_DEP_3) | instskip(NEXT) | instid1(VALU_DEP_1)
	v_add_f32_e32 v7, v7, v9
	v_exp_f32_e32 v7, v7
	s_waitcnt_depctr 0xfff
	v_ldexp_f32 v7, v7, v8
	s_delay_alu instid0(VALU_DEP_1) | instskip(SKIP_1) | instid1(VALU_DEP_1)
	v_cndmask_b32_e64 v7, 0, v7, s0
	v_cmp_nlt_f32_e64 s0, 0x42b17218, v6
	v_cndmask_b32_e64 v6, 0x7f800000, v7, s0
	s_delay_alu instid0(VALU_DEP_1) | instskip(NEXT) | instid1(VALU_DEP_1)
	v_add_f32_e32 v6, 1.0, v6
	v_rcp_f32_e32 v6, v6
	s_waitcnt_depctr 0xfff
	v_fma_f32 v6, v6, -2.0, 1.0
.LBB20_5:                               ;   in Loop: Header=BB20_3 Depth=1
	s_or_saveexec_b32 s0, s11
	v_cndmask_b32_e64 v5, v5, 0x7fc00000, vcc_lo
	s_xor_b32 exec_lo, exec_lo, s0
	s_cbranch_execz .LBB20_2
; %bb.6:                                ;   in Loop: Header=BB20_3 Depth=1
	s_delay_alu instid0(VALU_DEP_1) | instskip(NEXT) | instid1(VALU_DEP_1)
	v_mul_f32_e32 v7, v5, v5
	v_fmaak_f32 v8, s10, v7, 0x3ca908c9
	s_delay_alu instid0(VALU_DEP_1) | instskip(NEXT) | instid1(VALU_DEP_1)
	v_fmaak_f32 v8, v7, v8, 0xbd5c1c4e
	v_fmaak_f32 v8, v7, v8, 0x3e088382
	s_delay_alu instid0(VALU_DEP_1) | instskip(NEXT) | instid1(VALU_DEP_1)
	v_fmaak_f32 v8, v7, v8, 0xbeaaaa99
	v_mul_f32_e32 v8, v6, v8
	s_delay_alu instid0(VALU_DEP_1)
	v_fmac_f32_e32 v6, v7, v8
	s_branch .LBB20_2
.LBB20_7:
	s_nop 0
	s_sendmsg sendmsg(MSG_DEALLOC_VGPRS)
	s_endpgm
	.section	.rodata,"a",@progbits
	.p2align	6, 0x0
	.amdhsa_kernel _ZN4vllm17activation_kernelIN3c108BFloat16ETnPFT_RKS3_EXadL_ZNS_15gelu_new_kernelIS2_EES3_S5_EEEEvPS3_PS4_i
		.amdhsa_group_segment_fixed_size 0
		.amdhsa_private_segment_fixed_size 0
		.amdhsa_kernarg_size 280
		.amdhsa_user_sgpr_count 15
		.amdhsa_user_sgpr_dispatch_ptr 0
		.amdhsa_user_sgpr_queue_ptr 0
		.amdhsa_user_sgpr_kernarg_segment_ptr 1
		.amdhsa_user_sgpr_dispatch_id 0
		.amdhsa_user_sgpr_private_segment_size 0
		.amdhsa_wavefront_size32 1
		.amdhsa_uses_dynamic_stack 0
		.amdhsa_enable_private_segment 0
		.amdhsa_system_sgpr_workgroup_id_x 1
		.amdhsa_system_sgpr_workgroup_id_y 0
		.amdhsa_system_sgpr_workgroup_id_z 0
		.amdhsa_system_sgpr_workgroup_info 0
		.amdhsa_system_vgpr_workitem_id 0
		.amdhsa_next_free_vgpr 10
		.amdhsa_next_free_sgpr 16
		.amdhsa_reserve_vcc 1
		.amdhsa_float_round_mode_32 0
		.amdhsa_float_round_mode_16_64 0
		.amdhsa_float_denorm_mode_32 3
		.amdhsa_float_denorm_mode_16_64 3
		.amdhsa_dx10_clamp 1
		.amdhsa_ieee_mode 1
		.amdhsa_fp16_overflow 0
		.amdhsa_workgroup_processor_mode 1
		.amdhsa_memory_ordered 1
		.amdhsa_forward_progress 0
		.amdhsa_shared_vgpr_count 0
		.amdhsa_exception_fp_ieee_invalid_op 0
		.amdhsa_exception_fp_denorm_src 0
		.amdhsa_exception_fp_ieee_div_zero 0
		.amdhsa_exception_fp_ieee_overflow 0
		.amdhsa_exception_fp_ieee_underflow 0
		.amdhsa_exception_fp_ieee_inexact 0
		.amdhsa_exception_int_div_zero 0
	.end_amdhsa_kernel
	.section	.text._ZN4vllm17activation_kernelIN3c108BFloat16ETnPFT_RKS3_EXadL_ZNS_15gelu_new_kernelIS2_EES3_S5_EEEEvPS3_PS4_i,"axG",@progbits,_ZN4vllm17activation_kernelIN3c108BFloat16ETnPFT_RKS3_EXadL_ZNS_15gelu_new_kernelIS2_EES3_S5_EEEEvPS3_PS4_i,comdat
.Lfunc_end20:
	.size	_ZN4vllm17activation_kernelIN3c108BFloat16ETnPFT_RKS3_EXadL_ZNS_15gelu_new_kernelIS2_EES3_S5_EEEEvPS3_PS4_i, .Lfunc_end20-_ZN4vllm17activation_kernelIN3c108BFloat16ETnPFT_RKS3_EXadL_ZNS_15gelu_new_kernelIS2_EES3_S5_EEEEvPS3_PS4_i
                                        ; -- End function
	.section	.AMDGPU.csdata,"",@progbits
; Kernel info:
; codeLenInByte = 1008
; NumSgprs: 18
; NumVgprs: 10
; ScratchSize: 0
; MemoryBound: 0
; FloatMode: 240
; IeeeMode: 1
; LDSByteSize: 0 bytes/workgroup (compile time only)
; SGPRBlocks: 2
; VGPRBlocks: 1
; NumSGPRsForWavesPerEU: 18
; NumVGPRsForWavesPerEU: 10
; Occupancy: 16
; WaveLimiterHint : 0
; COMPUTE_PGM_RSRC2:SCRATCH_EN: 0
; COMPUTE_PGM_RSRC2:USER_SGPR: 15
; COMPUTE_PGM_RSRC2:TRAP_HANDLER: 0
; COMPUTE_PGM_RSRC2:TGID_X_EN: 1
; COMPUTE_PGM_RSRC2:TGID_Y_EN: 0
; COMPUTE_PGM_RSRC2:TGID_Z_EN: 0
; COMPUTE_PGM_RSRC2:TIDIG_COMP_CNT: 0
	.section	.text._ZN4vllm17activation_kernelIfTnPFT_RKS1_EXadL_ZNS_16gelu_fast_kernelIfEES1_S3_EEEEvPS1_PS2_i,"axG",@progbits,_ZN4vllm17activation_kernelIfTnPFT_RKS1_EXadL_ZNS_16gelu_fast_kernelIfEES1_S3_EEEEvPS1_PS2_i,comdat
	.protected	_ZN4vllm17activation_kernelIfTnPFT_RKS1_EXadL_ZNS_16gelu_fast_kernelIfEES1_S3_EEEEvPS1_PS2_i ; -- Begin function _ZN4vllm17activation_kernelIfTnPFT_RKS1_EXadL_ZNS_16gelu_fast_kernelIfEES1_S3_EEEEvPS1_PS2_i
	.globl	_ZN4vllm17activation_kernelIfTnPFT_RKS1_EXadL_ZNS_16gelu_fast_kernelIfEES1_S3_EEEEvPS1_PS2_i
	.p2align	8
	.type	_ZN4vllm17activation_kernelIfTnPFT_RKS1_EXadL_ZNS_16gelu_fast_kernelIfEES1_S3_EEEEvPS1_PS2_i,@function
_ZN4vllm17activation_kernelIfTnPFT_RKS1_EXadL_ZNS_16gelu_fast_kernelIfEES1_S3_EEEEvPS1_PS2_i: ; @_ZN4vllm17activation_kernelIfTnPFT_RKS1_EXadL_ZNS_16gelu_fast_kernelIfEES1_S3_EEEEvPS1_PS2_i
; %bb.0:
	s_load_b32 s2, s[0:1], 0x10
	s_mov_b32 s3, exec_lo
	s_waitcnt lgkmcnt(0)
	v_cmpx_gt_i32_e64 s2, v0
	s_cbranch_execz .LBB21_7
; %bb.1:
	v_mov_b32_e32 v1, 0
	s_clause 0x1
	s_load_b32 s8, s[0:1], 0x24
	s_load_b128 s[4:7], s[0:1], 0x0
	s_ashr_i32 s3, s2, 31
	s_mov_b32 s10, 0xbbbac73d
	v_mad_u64_u32 v[2:3], null, s2, s15, v[0:1]
	s_delay_alu instid0(VALU_DEP_1) | instskip(SKIP_2) | instid1(VALU_DEP_1)
	v_mad_u64_u32 v[4:5], null, s3, s15, v[3:4]
	s_waitcnt lgkmcnt(0)
	s_and_b32 s1, s8, 0xffff
	v_mov_b32_e32 v3, v4
	s_mov_b32 s8, 0
	s_lshl_b32 s9, s1, 2
	s_delay_alu instid0(VALU_DEP_1)
	v_lshlrev_b64 v[2:3], 2, v[2:3]
	s_branch .LBB21_3
.LBB21_2:                               ;   in Loop: Header=BB21_3 Depth=1
	s_or_b32 exec_lo, exec_lo, s0
	s_waitcnt_depctr 0xfff
	v_bfi_b32 v5, 0x7fffffff, v6, v5
	v_mul_f32_e32 v4, 0.5, v4
	v_add_co_u32 v0, vcc_lo, v0, s1
	v_add_co_ci_u32_e32 v1, vcc_lo, 0, v1, vcc_lo
	s_delay_alu instid0(VALU_DEP_4) | instskip(NEXT) | instid1(VALU_DEP_1)
	v_add_f32_e32 v5, 1.0, v5
	v_mul_f32_e32 v6, v4, v5
	v_add_co_u32 v4, vcc_lo, s4, v2
	v_add_co_ci_u32_e32 v5, vcc_lo, s5, v3, vcc_lo
	v_cmp_le_i64_e32 vcc_lo, s[2:3], v[0:1]
	v_add_co_u32 v2, s0, v2, s9
	s_delay_alu instid0(VALU_DEP_1) | instskip(SKIP_2) | instid1(SALU_CYCLE_1)
	v_add_co_ci_u32_e64 v3, s0, 0, v3, s0
	global_store_b32 v[4:5], v6, off
	s_or_b32 s8, vcc_lo, s8
	s_and_not1_b32 exec_lo, exec_lo, s8
	s_cbranch_execz .LBB21_7
.LBB21_3:                               ; =>This Inner Loop Header: Depth=1
	s_delay_alu instid0(VALU_DEP_1) | instskip(NEXT) | instid1(VALU_DEP_2)
	v_add_co_u32 v4, vcc_lo, s6, v2
	v_add_co_ci_u32_e32 v5, vcc_lo, s7, v3, vcc_lo
	global_load_b32 v4, v[4:5], off
	s_waitcnt vmcnt(0)
	v_mul_f32_e32 v5, 0x3d372713, v4
	v_mul_f32_e32 v6, 0x3f4c422a, v4
	s_delay_alu instid0(VALU_DEP_2) | instskip(NEXT) | instid1(VALU_DEP_1)
	v_fma_f32 v5, v4, v5, 1.0
	v_mul_f32_e32 v5, v6, v5
                                        ; implicit-def: $vgpr6
	s_delay_alu instid0(VALU_DEP_1) | instskip(NEXT) | instid1(VALU_DEP_1)
	v_cmp_ngt_f32_e64 s0, 0x3f200000, |v5|
	s_and_saveexec_b32 s11, s0
	s_delay_alu instid0(SALU_CYCLE_1)
	s_xor_b32 s0, exec_lo, s11
	s_cbranch_execz .LBB21_5
; %bb.4:                                ;   in Loop: Header=BB21_3 Depth=1
	v_add_f32_e64 v6, |v5|, |v5|
	s_delay_alu instid0(VALU_DEP_1) | instskip(SKIP_1) | instid1(VALU_DEP_2)
	v_mul_f32_e32 v7, 0x3fb8aa3b, v6
	v_cmp_ngt_f32_e32 vcc_lo, 0xc2ce8ed0, v6
	v_rndne_f32_e32 v8, v7
	v_fma_f32 v9, 0x3fb8aa3b, v6, -v7
	s_delay_alu instid0(VALU_DEP_2) | instskip(NEXT) | instid1(VALU_DEP_2)
	v_sub_f32_e32 v7, v7, v8
	v_fmac_f32_e32 v9, 0x32a5705f, v6
	v_cvt_i32_f32_e32 v8, v8
	s_delay_alu instid0(VALU_DEP_2) | instskip(NEXT) | instid1(VALU_DEP_1)
	v_add_f32_e32 v7, v7, v9
	v_exp_f32_e32 v7, v7
	s_waitcnt_depctr 0xfff
	v_ldexp_f32 v7, v7, v8
	s_delay_alu instid0(VALU_DEP_1) | instskip(SKIP_1) | instid1(VALU_DEP_2)
	v_cndmask_b32_e32 v7, 0, v7, vcc_lo
	v_cmp_nlt_f32_e32 vcc_lo, 0x42b17218, v6
	v_cndmask_b32_e32 v6, 0x7f800000, v7, vcc_lo
	s_delay_alu instid0(VALU_DEP_1) | instskip(NEXT) | instid1(VALU_DEP_1)
	v_add_f32_e32 v6, 1.0, v6
	v_rcp_f32_e32 v6, v6
	s_waitcnt_depctr 0xfff
	v_fma_f32 v6, v6, -2.0, 1.0
.LBB21_5:                               ;   in Loop: Header=BB21_3 Depth=1
	s_and_not1_saveexec_b32 s0, s0
	s_cbranch_execz .LBB21_2
; %bb.6:                                ;   in Loop: Header=BB21_3 Depth=1
	v_mul_f32_e32 v6, v5, v5
	s_delay_alu instid0(VALU_DEP_1) | instskip(NEXT) | instid1(VALU_DEP_1)
	v_fmaak_f32 v7, s10, v6, 0x3ca908c9
	v_fmaak_f32 v7, v6, v7, 0xbd5c1c4e
	s_delay_alu instid0(VALU_DEP_1) | instskip(NEXT) | instid1(VALU_DEP_1)
	v_fmaak_f32 v7, v6, v7, 0x3e088382
	v_fmaak_f32 v7, v6, v7, 0xbeaaaa99
	s_delay_alu instid0(VALU_DEP_1) | instskip(NEXT) | instid1(VALU_DEP_1)
	v_mul_f32_e64 v7, |v5|, v7
	v_fma_f32 v6, v6, v7, |v5|
	s_branch .LBB21_2
.LBB21_7:
	s_nop 0
	s_sendmsg sendmsg(MSG_DEALLOC_VGPRS)
	s_endpgm
	.section	.rodata,"a",@progbits
	.p2align	6, 0x0
	.amdhsa_kernel _ZN4vllm17activation_kernelIfTnPFT_RKS1_EXadL_ZNS_16gelu_fast_kernelIfEES1_S3_EEEEvPS1_PS2_i
		.amdhsa_group_segment_fixed_size 0
		.amdhsa_private_segment_fixed_size 0
		.amdhsa_kernarg_size 280
		.amdhsa_user_sgpr_count 15
		.amdhsa_user_sgpr_dispatch_ptr 0
		.amdhsa_user_sgpr_queue_ptr 0
		.amdhsa_user_sgpr_kernarg_segment_ptr 1
		.amdhsa_user_sgpr_dispatch_id 0
		.amdhsa_user_sgpr_private_segment_size 0
		.amdhsa_wavefront_size32 1
		.amdhsa_uses_dynamic_stack 0
		.amdhsa_enable_private_segment 0
		.amdhsa_system_sgpr_workgroup_id_x 1
		.amdhsa_system_sgpr_workgroup_id_y 0
		.amdhsa_system_sgpr_workgroup_id_z 0
		.amdhsa_system_sgpr_workgroup_info 0
		.amdhsa_system_vgpr_workitem_id 0
		.amdhsa_next_free_vgpr 10
		.amdhsa_next_free_sgpr 16
		.amdhsa_reserve_vcc 1
		.amdhsa_float_round_mode_32 0
		.amdhsa_float_round_mode_16_64 0
		.amdhsa_float_denorm_mode_32 3
		.amdhsa_float_denorm_mode_16_64 3
		.amdhsa_dx10_clamp 1
		.amdhsa_ieee_mode 1
		.amdhsa_fp16_overflow 0
		.amdhsa_workgroup_processor_mode 1
		.amdhsa_memory_ordered 1
		.amdhsa_forward_progress 0
		.amdhsa_shared_vgpr_count 0
		.amdhsa_exception_fp_ieee_invalid_op 0
		.amdhsa_exception_fp_denorm_src 0
		.amdhsa_exception_fp_ieee_div_zero 0
		.amdhsa_exception_fp_ieee_overflow 0
		.amdhsa_exception_fp_ieee_underflow 0
		.amdhsa_exception_fp_ieee_inexact 0
		.amdhsa_exception_int_div_zero 0
	.end_amdhsa_kernel
	.section	.text._ZN4vllm17activation_kernelIfTnPFT_RKS1_EXadL_ZNS_16gelu_fast_kernelIfEES1_S3_EEEEvPS1_PS2_i,"axG",@progbits,_ZN4vllm17activation_kernelIfTnPFT_RKS1_EXadL_ZNS_16gelu_fast_kernelIfEES1_S3_EEEEvPS1_PS2_i,comdat
.Lfunc_end21:
	.size	_ZN4vllm17activation_kernelIfTnPFT_RKS1_EXadL_ZNS_16gelu_fast_kernelIfEES1_S3_EEEEvPS1_PS2_i, .Lfunc_end21-_ZN4vllm17activation_kernelIfTnPFT_RKS1_EXadL_ZNS_16gelu_fast_kernelIfEES1_S3_EEEEvPS1_PS2_i
                                        ; -- End function
	.section	.AMDGPU.csdata,"",@progbits
; Kernel info:
; codeLenInByte = 544
; NumSgprs: 18
; NumVgprs: 10
; ScratchSize: 0
; MemoryBound: 0
; FloatMode: 240
; IeeeMode: 1
; LDSByteSize: 0 bytes/workgroup (compile time only)
; SGPRBlocks: 2
; VGPRBlocks: 1
; NumSGPRsForWavesPerEU: 18
; NumVGPRsForWavesPerEU: 10
; Occupancy: 16
; WaveLimiterHint : 0
; COMPUTE_PGM_RSRC2:SCRATCH_EN: 0
; COMPUTE_PGM_RSRC2:USER_SGPR: 15
; COMPUTE_PGM_RSRC2:TRAP_HANDLER: 0
; COMPUTE_PGM_RSRC2:TGID_X_EN: 1
; COMPUTE_PGM_RSRC2:TGID_Y_EN: 0
; COMPUTE_PGM_RSRC2:TGID_Z_EN: 0
; COMPUTE_PGM_RSRC2:TIDIG_COMP_CNT: 0
	.section	.text._ZN4vllm17activation_kernelIN3c104HalfETnPFT_RKS3_EXadL_ZNS_16gelu_fast_kernelIS2_EES3_S5_EEEEvPS3_PS4_i,"axG",@progbits,_ZN4vllm17activation_kernelIN3c104HalfETnPFT_RKS3_EXadL_ZNS_16gelu_fast_kernelIS2_EES3_S5_EEEEvPS3_PS4_i,comdat
	.protected	_ZN4vllm17activation_kernelIN3c104HalfETnPFT_RKS3_EXadL_ZNS_16gelu_fast_kernelIS2_EES3_S5_EEEEvPS3_PS4_i ; -- Begin function _ZN4vllm17activation_kernelIN3c104HalfETnPFT_RKS3_EXadL_ZNS_16gelu_fast_kernelIS2_EES3_S5_EEEEvPS3_PS4_i
	.globl	_ZN4vllm17activation_kernelIN3c104HalfETnPFT_RKS3_EXadL_ZNS_16gelu_fast_kernelIS2_EES3_S5_EEEEvPS3_PS4_i
	.p2align	8
	.type	_ZN4vllm17activation_kernelIN3c104HalfETnPFT_RKS3_EXadL_ZNS_16gelu_fast_kernelIS2_EES3_S5_EEEEvPS3_PS4_i,@function
_ZN4vllm17activation_kernelIN3c104HalfETnPFT_RKS3_EXadL_ZNS_16gelu_fast_kernelIS2_EES3_S5_EEEEvPS3_PS4_i: ; @_ZN4vllm17activation_kernelIN3c104HalfETnPFT_RKS3_EXadL_ZNS_16gelu_fast_kernelIS2_EES3_S5_EEEEvPS3_PS4_i
; %bb.0:
	s_load_b32 s2, s[0:1], 0x10
	s_mov_b32 s3, exec_lo
	s_waitcnt lgkmcnt(0)
	v_cmpx_gt_i32_e64 s2, v0
	s_cbranch_execz .LBB22_7
; %bb.1:
	v_mov_b32_e32 v1, 0
	s_clause 0x1
	s_load_b32 s8, s[0:1], 0x24
	s_load_b128 s[4:7], s[0:1], 0x0
	s_ashr_i32 s3, s2, 31
	s_mov_b32 s1, 0
	s_mov_b32 s10, 0x3f4c422a
	v_mad_u64_u32 v[2:3], null, s2, s15, v[0:1]
	s_mov_b32 s11, 0x3d372713
	s_mov_b32 s12, 0xbbbac73d
	s_delay_alu instid0(VALU_DEP_1) | instskip(SKIP_2) | instid1(VALU_DEP_1)
	v_mad_u64_u32 v[4:5], null, s3, s15, v[3:4]
	s_waitcnt lgkmcnt(0)
	s_and_b32 s8, s8, 0xffff
	v_mov_b32_e32 v3, v4
	s_lshl_b32 s9, s8, 1
	s_delay_alu instid0(VALU_DEP_1)
	v_lshlrev_b64 v[2:3], 1, v[2:3]
	s_branch .LBB22_3
.LBB22_2:                               ;   in Loop: Header=BB22_3 Depth=1
	s_or_b32 exec_lo, exec_lo, s0
	s_waitcnt_depctr 0xfff
	v_cvt_f16_f32_e32 v6, v6
	v_lshrrev_b32_e32 v5, 16, v5
	v_mul_f16_e32 v7, 0.5, v4
	v_add_co_u32 v0, vcc_lo, v0, s8
	v_add_co_ci_u32_e32 v1, vcc_lo, 0, v1, vcc_lo
	s_delay_alu instid0(VALU_DEP_4) | instskip(NEXT) | instid1(VALU_DEP_1)
	v_bfi_b32 v4, 0x7fff, v6, v5
	v_add_f16_e32 v6, 1.0, v4
	v_add_co_u32 v4, vcc_lo, s4, v2
	v_add_co_ci_u32_e32 v5, vcc_lo, s5, v3, vcc_lo
	v_cmp_le_i64_e32 vcc_lo, s[2:3], v[0:1]
	v_add_co_u32 v2, s0, v2, s9
	v_mul_f16_e32 v6, v7, v6
	v_add_co_ci_u32_e64 v3, s0, 0, v3, s0
	s_or_b32 s1, vcc_lo, s1
	global_store_b16 v[4:5], v6, off
	s_and_not1_b32 exec_lo, exec_lo, s1
	s_cbranch_execz .LBB22_7
.LBB22_3:                               ; =>This Inner Loop Header: Depth=1
	s_delay_alu instid0(VALU_DEP_1) | instskip(NEXT) | instid1(VALU_DEP_2)
	v_add_co_u32 v4, vcc_lo, s6, v2
	v_add_co_ci_u32_e32 v5, vcc_lo, s7, v3, vcc_lo
	global_load_u16 v4, v[4:5], off
	s_waitcnt vmcnt(0)
	v_fma_mixlo_f16 v5, v4, s11, 0 op_sel_hi:[1,0,0]
	v_fma_mixlo_f16 v6, v4, s10, 0 op_sel_hi:[1,0,0]
	s_delay_alu instid0(VALU_DEP_2) | instskip(NEXT) | instid1(VALU_DEP_1)
	v_fma_f16 v5, v4, v5, 1.0
	v_mul_f16_e32 v5, v5, v6
                                        ; implicit-def: $vgpr6
	s_delay_alu instid0(VALU_DEP_1) | instskip(NEXT) | instid1(VALU_DEP_1)
	v_cvt_f32_f16_e32 v5, v5
	v_cmp_ngt_f32_e64 s0, 0x3f200000, |v5|
	s_delay_alu instid0(VALU_DEP_1) | instskip(NEXT) | instid1(SALU_CYCLE_1)
	s_and_saveexec_b32 s13, s0
	s_xor_b32 s0, exec_lo, s13
	s_cbranch_execz .LBB22_5
; %bb.4:                                ;   in Loop: Header=BB22_3 Depth=1
	v_add_f32_e64 v6, |v5|, |v5|
	s_delay_alu instid0(VALU_DEP_1) | instskip(SKIP_1) | instid1(VALU_DEP_2)
	v_mul_f32_e32 v7, 0x3fb8aa3b, v6
	v_cmp_ngt_f32_e32 vcc_lo, 0xc2ce8ed0, v6
	v_rndne_f32_e32 v8, v7
	v_fma_f32 v9, 0x3fb8aa3b, v6, -v7
	s_delay_alu instid0(VALU_DEP_2) | instskip(NEXT) | instid1(VALU_DEP_2)
	v_sub_f32_e32 v7, v7, v8
	v_fmac_f32_e32 v9, 0x32a5705f, v6
	v_cvt_i32_f32_e32 v8, v8
	s_delay_alu instid0(VALU_DEP_2) | instskip(NEXT) | instid1(VALU_DEP_1)
	v_add_f32_e32 v7, v7, v9
	v_exp_f32_e32 v7, v7
	s_waitcnt_depctr 0xfff
	v_ldexp_f32 v7, v7, v8
	s_delay_alu instid0(VALU_DEP_1) | instskip(SKIP_1) | instid1(VALU_DEP_2)
	v_cndmask_b32_e32 v7, 0, v7, vcc_lo
	v_cmp_nlt_f32_e32 vcc_lo, 0x42b17218, v6
	v_cndmask_b32_e32 v6, 0x7f800000, v7, vcc_lo
	s_delay_alu instid0(VALU_DEP_1) | instskip(NEXT) | instid1(VALU_DEP_1)
	v_add_f32_e32 v6, 1.0, v6
	v_rcp_f32_e32 v6, v6
	s_waitcnt_depctr 0xfff
	v_fma_f32 v6, v6, -2.0, 1.0
.LBB22_5:                               ;   in Loop: Header=BB22_3 Depth=1
	s_and_not1_saveexec_b32 s0, s0
	s_cbranch_execz .LBB22_2
; %bb.6:                                ;   in Loop: Header=BB22_3 Depth=1
	v_mul_f32_e32 v6, v5, v5
	s_delay_alu instid0(VALU_DEP_1) | instskip(NEXT) | instid1(VALU_DEP_1)
	v_fmaak_f32 v7, s12, v6, 0x3ca908c9
	v_fmaak_f32 v7, v6, v7, 0xbd5c1c4e
	s_delay_alu instid0(VALU_DEP_1) | instskip(NEXT) | instid1(VALU_DEP_1)
	v_fmaak_f32 v7, v6, v7, 0x3e088382
	v_fmaak_f32 v7, v6, v7, 0xbeaaaa99
	s_delay_alu instid0(VALU_DEP_1) | instskip(NEXT) | instid1(VALU_DEP_1)
	v_mul_f32_e64 v7, |v5|, v7
	v_fma_f32 v6, v6, v7, |v5|
	s_branch .LBB22_2
.LBB22_7:
	s_nop 0
	s_sendmsg sendmsg(MSG_DEALLOC_VGPRS)
	s_endpgm
	.section	.rodata,"a",@progbits
	.p2align	6, 0x0
	.amdhsa_kernel _ZN4vllm17activation_kernelIN3c104HalfETnPFT_RKS3_EXadL_ZNS_16gelu_fast_kernelIS2_EES3_S5_EEEEvPS3_PS4_i
		.amdhsa_group_segment_fixed_size 0
		.amdhsa_private_segment_fixed_size 0
		.amdhsa_kernarg_size 280
		.amdhsa_user_sgpr_count 15
		.amdhsa_user_sgpr_dispatch_ptr 0
		.amdhsa_user_sgpr_queue_ptr 0
		.amdhsa_user_sgpr_kernarg_segment_ptr 1
		.amdhsa_user_sgpr_dispatch_id 0
		.amdhsa_user_sgpr_private_segment_size 0
		.amdhsa_wavefront_size32 1
		.amdhsa_uses_dynamic_stack 0
		.amdhsa_enable_private_segment 0
		.amdhsa_system_sgpr_workgroup_id_x 1
		.amdhsa_system_sgpr_workgroup_id_y 0
		.amdhsa_system_sgpr_workgroup_id_z 0
		.amdhsa_system_sgpr_workgroup_info 0
		.amdhsa_system_vgpr_workitem_id 0
		.amdhsa_next_free_vgpr 10
		.amdhsa_next_free_sgpr 16
		.amdhsa_reserve_vcc 1
		.amdhsa_float_round_mode_32 0
		.amdhsa_float_round_mode_16_64 0
		.amdhsa_float_denorm_mode_32 3
		.amdhsa_float_denorm_mode_16_64 3
		.amdhsa_dx10_clamp 1
		.amdhsa_ieee_mode 1
		.amdhsa_fp16_overflow 0
		.amdhsa_workgroup_processor_mode 1
		.amdhsa_memory_ordered 1
		.amdhsa_forward_progress 0
		.amdhsa_shared_vgpr_count 0
		.amdhsa_exception_fp_ieee_invalid_op 0
		.amdhsa_exception_fp_denorm_src 0
		.amdhsa_exception_fp_ieee_div_zero 0
		.amdhsa_exception_fp_ieee_overflow 0
		.amdhsa_exception_fp_ieee_underflow 0
		.amdhsa_exception_fp_ieee_inexact 0
		.amdhsa_exception_int_div_zero 0
	.end_amdhsa_kernel
	.section	.text._ZN4vllm17activation_kernelIN3c104HalfETnPFT_RKS3_EXadL_ZNS_16gelu_fast_kernelIS2_EES3_S5_EEEEvPS3_PS4_i,"axG",@progbits,_ZN4vllm17activation_kernelIN3c104HalfETnPFT_RKS3_EXadL_ZNS_16gelu_fast_kernelIS2_EES3_S5_EEEEvPS3_PS4_i,comdat
.Lfunc_end22:
	.size	_ZN4vllm17activation_kernelIN3c104HalfETnPFT_RKS3_EXadL_ZNS_16gelu_fast_kernelIS2_EES3_S5_EEEEvPS3_PS4_i, .Lfunc_end22-_ZN4vllm17activation_kernelIN3c104HalfETnPFT_RKS3_EXadL_ZNS_16gelu_fast_kernelIS2_EES3_S5_EEEEvPS3_PS4_i
                                        ; -- End function
	.section	.AMDGPU.csdata,"",@progbits
; Kernel info:
; codeLenInByte = 568
; NumSgprs: 18
; NumVgprs: 10
; ScratchSize: 0
; MemoryBound: 0
; FloatMode: 240
; IeeeMode: 1
; LDSByteSize: 0 bytes/workgroup (compile time only)
; SGPRBlocks: 2
; VGPRBlocks: 1
; NumSGPRsForWavesPerEU: 18
; NumVGPRsForWavesPerEU: 10
; Occupancy: 16
; WaveLimiterHint : 0
; COMPUTE_PGM_RSRC2:SCRATCH_EN: 0
; COMPUTE_PGM_RSRC2:USER_SGPR: 15
; COMPUTE_PGM_RSRC2:TRAP_HANDLER: 0
; COMPUTE_PGM_RSRC2:TGID_X_EN: 1
; COMPUTE_PGM_RSRC2:TGID_Y_EN: 0
; COMPUTE_PGM_RSRC2:TGID_Z_EN: 0
; COMPUTE_PGM_RSRC2:TIDIG_COMP_CNT: 0
	.section	.text._ZN4vllm17activation_kernelIN3c108BFloat16ETnPFT_RKS3_EXadL_ZNS_16gelu_fast_kernelIS2_EES3_S5_EEEEvPS3_PS4_i,"axG",@progbits,_ZN4vllm17activation_kernelIN3c108BFloat16ETnPFT_RKS3_EXadL_ZNS_16gelu_fast_kernelIS2_EES3_S5_EEEEvPS3_PS4_i,comdat
	.protected	_ZN4vllm17activation_kernelIN3c108BFloat16ETnPFT_RKS3_EXadL_ZNS_16gelu_fast_kernelIS2_EES3_S5_EEEEvPS3_PS4_i ; -- Begin function _ZN4vllm17activation_kernelIN3c108BFloat16ETnPFT_RKS3_EXadL_ZNS_16gelu_fast_kernelIS2_EES3_S5_EEEEvPS3_PS4_i
	.globl	_ZN4vllm17activation_kernelIN3c108BFloat16ETnPFT_RKS3_EXadL_ZNS_16gelu_fast_kernelIS2_EES3_S5_EEEEvPS3_PS4_i
	.p2align	8
	.type	_ZN4vllm17activation_kernelIN3c108BFloat16ETnPFT_RKS3_EXadL_ZNS_16gelu_fast_kernelIS2_EES3_S5_EEEEvPS3_PS4_i,@function
_ZN4vllm17activation_kernelIN3c108BFloat16ETnPFT_RKS3_EXadL_ZNS_16gelu_fast_kernelIS2_EES3_S5_EEEEvPS3_PS4_i: ; @_ZN4vllm17activation_kernelIN3c108BFloat16ETnPFT_RKS3_EXadL_ZNS_16gelu_fast_kernelIS2_EES3_S5_EEEEvPS3_PS4_i
; %bb.0:
	s_load_b32 s2, s[0:1], 0x10
	s_mov_b32 s3, exec_lo
	s_waitcnt lgkmcnt(0)
	v_cmpx_gt_i32_e64 s2, v0
	s_cbranch_execz .LBB23_7
; %bb.1:
	v_mov_b32_e32 v1, 0
	s_clause 0x1
	s_load_b32 s8, s[0:1], 0x24
	s_load_b128 s[4:7], s[0:1], 0x0
	s_ashr_i32 s3, s2, 31
	s_mov_b32 s10, 0xbbbac73d
	v_mad_u64_u32 v[2:3], null, s2, s15, v[0:1]
	s_delay_alu instid0(VALU_DEP_1) | instskip(SKIP_2) | instid1(VALU_DEP_1)
	v_mad_u64_u32 v[4:5], null, s3, s15, v[3:4]
	s_waitcnt lgkmcnt(0)
	s_and_b32 s1, s8, 0xffff
	v_mov_b32_e32 v3, v4
	s_mov_b32 s8, 0
	s_lshl_b32 s9, s1, 1
	s_delay_alu instid0(VALU_DEP_1)
	v_lshlrev_b64 v[2:3], 1, v[2:3]
	s_branch .LBB23_3
.LBB23_2:                               ;   in Loop: Header=BB23_3 Depth=1
	s_or_b32 exec_lo, exec_lo, s0
	s_waitcnt_depctr 0xfff
	v_bfi_b32 v5, 0x7fffffff, v6, v5
	s_delay_alu instid0(VALU_DEP_1) | instskip(SKIP_1) | instid1(VALU_DEP_2)
	v_bfe_u32 v6, v5, 16, 1
	v_cmp_o_f32_e32 vcc_lo, v5, v5
	v_add3_u32 v6, v5, v6, 0x7fff
	s_delay_alu instid0(VALU_DEP_1) | instskip(NEXT) | instid1(VALU_DEP_1)
	v_and_b32_e32 v6, 0xffff0000, v6
	v_add_f32_e32 v6, 1.0, v6
	s_delay_alu instid0(VALU_DEP_1) | instskip(NEXT) | instid1(VALU_DEP_1)
	v_dual_mul_f32 v4, 0.5, v4 :: v_dual_cndmask_b32 v5, 0x7fc00000, v6
	v_bfe_u32 v6, v4, 16, 1
	v_cmp_o_f32_e32 vcc_lo, v4, v4
	s_delay_alu instid0(VALU_DEP_3) | instskip(NEXT) | instid1(VALU_DEP_3)
	v_bfe_u32 v7, v5, 16, 1
	v_add3_u32 v6, v4, v6, 0x7fff
	s_delay_alu instid0(VALU_DEP_2) | instskip(NEXT) | instid1(VALU_DEP_2)
	v_add3_u32 v7, v5, v7, 0x7fff
	v_and_b32_e32 v6, 0xffff0000, v6
	s_delay_alu instid0(VALU_DEP_2) | instskip(NEXT) | instid1(VALU_DEP_2)
	v_and_b32_e32 v7, 0xffff0000, v7
	v_cndmask_b32_e32 v4, 0x7fc00000, v6, vcc_lo
	v_cmp_o_f32_e32 vcc_lo, v5, v5
	s_delay_alu instid0(VALU_DEP_3) | instskip(SKIP_2) | instid1(VALU_DEP_3)
	v_cndmask_b32_e32 v5, 0x7fc00000, v7, vcc_lo
	v_add_co_u32 v0, vcc_lo, v0, s1
	v_add_co_ci_u32_e32 v1, vcc_lo, 0, v1, vcc_lo
	v_mul_f32_e32 v6, v4, v5
	s_delay_alu instid0(VALU_DEP_1) | instskip(SKIP_1) | instid1(VALU_DEP_2)
	v_bfe_u32 v4, v6, 16, 1
	v_cmp_o_f32_e64 s0, v6, v6
	v_add3_u32 v4, v6, v4, 0x7fff
	s_delay_alu instid0(VALU_DEP_1) | instskip(SKIP_3) | instid1(VALU_DEP_4)
	v_lshrrev_b32_e32 v7, 16, v4
	v_add_co_u32 v4, vcc_lo, s4, v2
	v_add_co_ci_u32_e32 v5, vcc_lo, s5, v3, vcc_lo
	v_cmp_le_i64_e32 vcc_lo, s[2:3], v[0:1]
	v_cndmask_b32_e64 v6, 0x7fc0, v7, s0
	v_add_co_u32 v2, s0, v2, s9
	s_delay_alu instid0(VALU_DEP_1)
	v_add_co_ci_u32_e64 v3, s0, 0, v3, s0
	s_or_b32 s8, vcc_lo, s8
	global_store_b16 v[4:5], v6, off
	s_and_not1_b32 exec_lo, exec_lo, s8
	s_cbranch_execz .LBB23_7
.LBB23_3:                               ; =>This Inner Loop Header: Depth=1
	s_delay_alu instid0(VALU_DEP_1) | instskip(NEXT) | instid1(VALU_DEP_2)
	v_add_co_u32 v4, vcc_lo, s6, v2
	v_add_co_ci_u32_e32 v5, vcc_lo, s7, v3, vcc_lo
	s_mov_b32 s11, exec_lo
	global_load_u16 v4, v[4:5], off
	s_waitcnt vmcnt(0)
	v_lshlrev_b32_e32 v4, 16, v4
	s_delay_alu instid0(VALU_DEP_1) | instskip(NEXT) | instid1(VALU_DEP_1)
	v_mul_f32_e32 v5, 0x3d372713, v4
	v_bfe_u32 v6, v5, 16, 1
	v_cmp_o_f32_e32 vcc_lo, v5, v5
	s_delay_alu instid0(VALU_DEP_2) | instskip(NEXT) | instid1(VALU_DEP_1)
	v_add3_u32 v6, v5, v6, 0x7fff
	v_and_b32_e32 v6, 0xffff0000, v6
	s_delay_alu instid0(VALU_DEP_1) | instskip(SKIP_1) | instid1(VALU_DEP_2)
	v_cndmask_b32_e32 v5, 0x7fc00000, v6, vcc_lo
	v_mul_f32_e32 v7, 0x3f4c422a, v4
	v_mul_f32_e32 v5, v5, v4
	s_delay_alu instid0(VALU_DEP_1) | instskip(SKIP_1) | instid1(VALU_DEP_2)
	v_bfe_u32 v6, v5, 16, 1
	v_cmp_o_f32_e32 vcc_lo, v5, v5
	v_add3_u32 v6, v5, v6, 0x7fff
	s_delay_alu instid0(VALU_DEP_1) | instskip(NEXT) | instid1(VALU_DEP_1)
	v_and_b32_e32 v6, 0xffff0000, v6
	v_add_f32_e32 v6, 1.0, v6
	s_delay_alu instid0(VALU_DEP_1) | instskip(SKIP_2) | instid1(VALU_DEP_3)
	v_cndmask_b32_e32 v5, 0x7fc00000, v6, vcc_lo
	v_bfe_u32 v6, v7, 16, 1
	v_cmp_o_f32_e32 vcc_lo, v7, v7
	v_bfe_u32 v8, v5, 16, 1
	s_delay_alu instid0(VALU_DEP_3) | instskip(NEXT) | instid1(VALU_DEP_2)
	v_add3_u32 v6, v7, v6, 0x7fff
	v_add3_u32 v8, v5, v8, 0x7fff
	s_delay_alu instid0(VALU_DEP_2) | instskip(NEXT) | instid1(VALU_DEP_2)
	v_and_b32_e32 v6, 0xffff0000, v6
	v_and_b32_e32 v8, 0xffff0000, v8
	s_delay_alu instid0(VALU_DEP_2) | instskip(SKIP_1) | instid1(VALU_DEP_3)
	v_cndmask_b32_e32 v6, 0x7fc00000, v6, vcc_lo
	v_cmp_o_f32_e32 vcc_lo, v5, v5
	v_cndmask_b32_e32 v5, 0x7fc00000, v8, vcc_lo
	s_delay_alu instid0(VALU_DEP_1) | instskip(NEXT) | instid1(VALU_DEP_1)
	v_mul_f32_e32 v6, v6, v5
	v_bfe_u32 v5, v6, 16, 1
	v_cmp_u_f32_e32 vcc_lo, v6, v6
	s_delay_alu instid0(VALU_DEP_2) | instskip(NEXT) | instid1(VALU_DEP_1)
	v_add3_u32 v5, v6, v5, 0x7fff
	v_and_b32_e32 v5, 0xffff0000, v5
	s_delay_alu instid0(VALU_DEP_1) | instskip(NEXT) | instid1(VALU_DEP_1)
	v_cndmask_b32_e64 v6, |v5|, 0x7fc00000, vcc_lo
	v_cmpx_ngt_f32_e32 0x3f200000, v6
	s_xor_b32 s11, exec_lo, s11
	s_cbranch_execz .LBB23_5
; %bb.4:                                ;   in Loop: Header=BB23_3 Depth=1
	v_add_f32_e32 v6, v6, v6
	s_delay_alu instid0(VALU_DEP_1) | instskip(NEXT) | instid1(VALU_DEP_1)
	v_mul_f32_e32 v7, 0x3fb8aa3b, v6
	v_rndne_f32_e32 v8, v7
	v_fma_f32 v9, 0x3fb8aa3b, v6, -v7
	s_delay_alu instid0(VALU_DEP_2) | instskip(NEXT) | instid1(VALU_DEP_2)
	v_sub_f32_e32 v7, v7, v8
	v_fmac_f32_e32 v9, 0x32a5705f, v6
	v_cvt_i32_f32_e32 v8, v8
	v_cmp_ngt_f32_e64 s0, 0xc2ce8ed0, v6
	s_delay_alu instid0(VALU_DEP_3) | instskip(NEXT) | instid1(VALU_DEP_1)
	v_add_f32_e32 v7, v7, v9
	v_exp_f32_e32 v7, v7
	s_waitcnt_depctr 0xfff
	v_ldexp_f32 v7, v7, v8
	s_delay_alu instid0(VALU_DEP_1) | instskip(SKIP_1) | instid1(VALU_DEP_1)
	v_cndmask_b32_e64 v7, 0, v7, s0
	v_cmp_nlt_f32_e64 s0, 0x42b17218, v6
	v_cndmask_b32_e64 v6, 0x7f800000, v7, s0
	s_delay_alu instid0(VALU_DEP_1) | instskip(NEXT) | instid1(VALU_DEP_1)
	v_add_f32_e32 v6, 1.0, v6
	v_rcp_f32_e32 v6, v6
	s_waitcnt_depctr 0xfff
	v_fma_f32 v6, v6, -2.0, 1.0
.LBB23_5:                               ;   in Loop: Header=BB23_3 Depth=1
	s_or_saveexec_b32 s0, s11
	v_cndmask_b32_e64 v5, v5, 0x7fc00000, vcc_lo
	s_xor_b32 exec_lo, exec_lo, s0
	s_cbranch_execz .LBB23_2
; %bb.6:                                ;   in Loop: Header=BB23_3 Depth=1
	s_delay_alu instid0(VALU_DEP_1) | instskip(NEXT) | instid1(VALU_DEP_1)
	v_mul_f32_e32 v7, v5, v5
	v_fmaak_f32 v8, s10, v7, 0x3ca908c9
	s_delay_alu instid0(VALU_DEP_1) | instskip(NEXT) | instid1(VALU_DEP_1)
	v_fmaak_f32 v8, v7, v8, 0xbd5c1c4e
	v_fmaak_f32 v8, v7, v8, 0x3e088382
	s_delay_alu instid0(VALU_DEP_1) | instskip(NEXT) | instid1(VALU_DEP_1)
	v_fmaak_f32 v8, v7, v8, 0xbeaaaa99
	v_mul_f32_e32 v8, v6, v8
	s_delay_alu instid0(VALU_DEP_1)
	v_fmac_f32_e32 v6, v7, v8
	s_branch .LBB23_2
.LBB23_7:
	s_nop 0
	s_sendmsg sendmsg(MSG_DEALLOC_VGPRS)
	s_endpgm
	.section	.rodata,"a",@progbits
	.p2align	6, 0x0
	.amdhsa_kernel _ZN4vllm17activation_kernelIN3c108BFloat16ETnPFT_RKS3_EXadL_ZNS_16gelu_fast_kernelIS2_EES3_S5_EEEEvPS3_PS4_i
		.amdhsa_group_segment_fixed_size 0
		.amdhsa_private_segment_fixed_size 0
		.amdhsa_kernarg_size 280
		.amdhsa_user_sgpr_count 15
		.amdhsa_user_sgpr_dispatch_ptr 0
		.amdhsa_user_sgpr_queue_ptr 0
		.amdhsa_user_sgpr_kernarg_segment_ptr 1
		.amdhsa_user_sgpr_dispatch_id 0
		.amdhsa_user_sgpr_private_segment_size 0
		.amdhsa_wavefront_size32 1
		.amdhsa_uses_dynamic_stack 0
		.amdhsa_enable_private_segment 0
		.amdhsa_system_sgpr_workgroup_id_x 1
		.amdhsa_system_sgpr_workgroup_id_y 0
		.amdhsa_system_sgpr_workgroup_id_z 0
		.amdhsa_system_sgpr_workgroup_info 0
		.amdhsa_system_vgpr_workitem_id 0
		.amdhsa_next_free_vgpr 10
		.amdhsa_next_free_sgpr 16
		.amdhsa_reserve_vcc 1
		.amdhsa_float_round_mode_32 0
		.amdhsa_float_round_mode_16_64 0
		.amdhsa_float_denorm_mode_32 3
		.amdhsa_float_denorm_mode_16_64 3
		.amdhsa_dx10_clamp 1
		.amdhsa_ieee_mode 1
		.amdhsa_fp16_overflow 0
		.amdhsa_workgroup_processor_mode 1
		.amdhsa_memory_ordered 1
		.amdhsa_forward_progress 0
		.amdhsa_shared_vgpr_count 0
		.amdhsa_exception_fp_ieee_invalid_op 0
		.amdhsa_exception_fp_denorm_src 0
		.amdhsa_exception_fp_ieee_div_zero 0
		.amdhsa_exception_fp_ieee_overflow 0
		.amdhsa_exception_fp_ieee_underflow 0
		.amdhsa_exception_fp_ieee_inexact 0
		.amdhsa_exception_int_div_zero 0
	.end_amdhsa_kernel
	.section	.text._ZN4vllm17activation_kernelIN3c108BFloat16ETnPFT_RKS3_EXadL_ZNS_16gelu_fast_kernelIS2_EES3_S5_EEEEvPS3_PS4_i,"axG",@progbits,_ZN4vllm17activation_kernelIN3c108BFloat16ETnPFT_RKS3_EXadL_ZNS_16gelu_fast_kernelIS2_EES3_S5_EEEEvPS3_PS4_i,comdat
.Lfunc_end23:
	.size	_ZN4vllm17activation_kernelIN3c108BFloat16ETnPFT_RKS3_EXadL_ZNS_16gelu_fast_kernelIS2_EES3_S5_EEEEvPS3_PS4_i, .Lfunc_end23-_ZN4vllm17activation_kernelIN3c108BFloat16ETnPFT_RKS3_EXadL_ZNS_16gelu_fast_kernelIS2_EES3_S5_EEEEvPS3_PS4_i
                                        ; -- End function
	.section	.AMDGPU.csdata,"",@progbits
; Kernel info:
; codeLenInByte = 1004
; NumSgprs: 18
; NumVgprs: 10
; ScratchSize: 0
; MemoryBound: 0
; FloatMode: 240
; IeeeMode: 1
; LDSByteSize: 0 bytes/workgroup (compile time only)
; SGPRBlocks: 2
; VGPRBlocks: 1
; NumSGPRsForWavesPerEU: 18
; NumVGPRsForWavesPerEU: 10
; Occupancy: 16
; WaveLimiterHint : 0
; COMPUTE_PGM_RSRC2:SCRATCH_EN: 0
; COMPUTE_PGM_RSRC2:USER_SGPR: 15
; COMPUTE_PGM_RSRC2:TRAP_HANDLER: 0
; COMPUTE_PGM_RSRC2:TGID_X_EN: 1
; COMPUTE_PGM_RSRC2:TGID_Y_EN: 0
; COMPUTE_PGM_RSRC2:TGID_Z_EN: 0
; COMPUTE_PGM_RSRC2:TIDIG_COMP_CNT: 0
	.section	.text._ZN4vllm17activation_kernelIfTnPFT_RKS1_EXadL_ZNS_17gelu_quick_kernelIfEES1_S3_EEEEvPS1_PS2_i,"axG",@progbits,_ZN4vllm17activation_kernelIfTnPFT_RKS1_EXadL_ZNS_17gelu_quick_kernelIfEES1_S3_EEEEvPS1_PS2_i,comdat
	.protected	_ZN4vllm17activation_kernelIfTnPFT_RKS1_EXadL_ZNS_17gelu_quick_kernelIfEES1_S3_EEEEvPS1_PS2_i ; -- Begin function _ZN4vllm17activation_kernelIfTnPFT_RKS1_EXadL_ZNS_17gelu_quick_kernelIfEES1_S3_EEEEvPS1_PS2_i
	.globl	_ZN4vllm17activation_kernelIfTnPFT_RKS1_EXadL_ZNS_17gelu_quick_kernelIfEES1_S3_EEEEvPS1_PS2_i
	.p2align	8
	.type	_ZN4vllm17activation_kernelIfTnPFT_RKS1_EXadL_ZNS_17gelu_quick_kernelIfEES1_S3_EEEEvPS1_PS2_i,@function
_ZN4vllm17activation_kernelIfTnPFT_RKS1_EXadL_ZNS_17gelu_quick_kernelIfEES1_S3_EEEEvPS1_PS2_i: ; @_ZN4vllm17activation_kernelIfTnPFT_RKS1_EXadL_ZNS_17gelu_quick_kernelIfEES1_S3_EEEEvPS1_PS2_i
; %bb.0:
	s_load_b32 s2, s[0:1], 0x10
	s_mov_b32 s3, exec_lo
	s_waitcnt lgkmcnt(0)
	v_cmpx_gt_i32_e64 s2, v0
	s_cbranch_execz .LBB24_3
; %bb.1:
	v_mov_b32_e32 v1, 0
	s_clause 0x1
	s_load_b32 s8, s[0:1], 0x24
	s_load_b128 s[4:7], s[0:1], 0x0
	s_ashr_i32 s3, s2, 31
	v_mad_u64_u32 v[2:3], null, s2, s15, v[0:1]
	s_delay_alu instid0(VALU_DEP_1) | instskip(SKIP_2) | instid1(VALU_DEP_1)
	v_mad_u64_u32 v[4:5], null, s3, s15, v[3:4]
	s_waitcnt lgkmcnt(0)
	s_and_b32 s1, s8, 0xffff
	v_mov_b32_e32 v3, v4
	s_mov_b32 s8, 0
	s_lshl_b32 s9, s1, 2
	s_delay_alu instid0(VALU_DEP_1)
	v_lshlrev_b64 v[2:3], 2, v[2:3]
.LBB24_2:                               ; =>This Inner Loop Header: Depth=1
	s_delay_alu instid0(VALU_DEP_1) | instskip(NEXT) | instid1(VALU_DEP_2)
	v_add_co_u32 v4, vcc_lo, s6, v2
	v_add_co_ci_u32_e32 v5, vcc_lo, s7, v3, vcc_lo
	global_load_b32 v6, v[4:5], off
	s_waitcnt vmcnt(0)
	v_mul_f32_e32 v4, 0xbfd9db23, v6
	s_delay_alu instid0(VALU_DEP_1) | instskip(NEXT) | instid1(VALU_DEP_1)
	v_mul_f32_e32 v5, 0x3fb8aa3b, v4
	v_fma_f32 v7, 0x3fb8aa3b, v4, -v5
	v_rndne_f32_e32 v8, v5
	s_delay_alu instid0(VALU_DEP_1) | instskip(NEXT) | instid1(VALU_DEP_3)
	v_sub_f32_e32 v5, v5, v8
	v_fmac_f32_e32 v7, 0x32a5705f, v4
	v_cmp_ngt_f32_e32 vcc_lo, 0xc2ce8ed0, v4
	s_delay_alu instid0(VALU_DEP_2) | instskip(SKIP_1) | instid1(VALU_DEP_2)
	v_add_f32_e32 v5, v5, v7
	v_cvt_i32_f32_e32 v7, v8
	v_exp_f32_e32 v5, v5
	s_waitcnt_depctr 0xfff
	v_ldexp_f32 v5, v5, v7
	s_delay_alu instid0(VALU_DEP_1) | instskip(SKIP_1) | instid1(VALU_DEP_2)
	v_cndmask_b32_e32 v5, 0, v5, vcc_lo
	v_cmp_nlt_f32_e32 vcc_lo, 0x42b17218, v4
	v_cndmask_b32_e32 v4, 0x7f800000, v5, vcc_lo
	s_delay_alu instid0(VALU_DEP_1) | instskip(NEXT) | instid1(VALU_DEP_1)
	v_add_f32_e32 v7, 1.0, v4
	v_div_scale_f32 v8, null, v7, v7, v6
	v_div_scale_f32 v10, vcc_lo, v6, v7, v6
	s_delay_alu instid0(VALU_DEP_2) | instskip(SKIP_2) | instid1(VALU_DEP_1)
	v_rcp_f32_e32 v9, v8
	s_waitcnt_depctr 0xfff
	v_fma_f32 v4, -v8, v9, 1.0
	v_fmac_f32_e32 v9, v4, v9
	v_add_co_u32 v4, s0, s4, v2
	s_delay_alu instid0(VALU_DEP_2) | instskip(NEXT) | instid1(VALU_DEP_1)
	v_mul_f32_e32 v11, v10, v9
	v_fma_f32 v5, -v8, v11, v10
	s_delay_alu instid0(VALU_DEP_1) | instskip(SKIP_2) | instid1(VALU_DEP_3)
	v_fmac_f32_e32 v11, v5, v9
	v_add_co_ci_u32_e64 v5, s0, s5, v3, s0
	v_add_co_u32 v0, s0, v0, s1
	v_fma_f32 v8, -v8, v11, v10
	v_add_co_ci_u32_e64 v1, s0, 0, v1, s0
	v_add_co_u32 v2, s0, v2, s9
	s_delay_alu instid0(VALU_DEP_3) | instskip(NEXT) | instid1(VALU_DEP_3)
	v_div_fmas_f32 v8, v8, v9, v11
	v_cmp_le_i64_e32 vcc_lo, s[2:3], v[0:1]
	v_add_co_ci_u32_e64 v3, s0, 0, v3, s0
	s_delay_alu instid0(VALU_DEP_3)
	v_div_fixup_f32 v6, v8, v7, v6
	s_or_b32 s8, vcc_lo, s8
	global_store_b32 v[4:5], v6, off
	s_and_not1_b32 exec_lo, exec_lo, s8
	s_cbranch_execnz .LBB24_2
.LBB24_3:
	s_nop 0
	s_sendmsg sendmsg(MSG_DEALLOC_VGPRS)
	s_endpgm
	.section	.rodata,"a",@progbits
	.p2align	6, 0x0
	.amdhsa_kernel _ZN4vllm17activation_kernelIfTnPFT_RKS1_EXadL_ZNS_17gelu_quick_kernelIfEES1_S3_EEEEvPS1_PS2_i
		.amdhsa_group_segment_fixed_size 0
		.amdhsa_private_segment_fixed_size 0
		.amdhsa_kernarg_size 280
		.amdhsa_user_sgpr_count 15
		.amdhsa_user_sgpr_dispatch_ptr 0
		.amdhsa_user_sgpr_queue_ptr 0
		.amdhsa_user_sgpr_kernarg_segment_ptr 1
		.amdhsa_user_sgpr_dispatch_id 0
		.amdhsa_user_sgpr_private_segment_size 0
		.amdhsa_wavefront_size32 1
		.amdhsa_uses_dynamic_stack 0
		.amdhsa_enable_private_segment 0
		.amdhsa_system_sgpr_workgroup_id_x 1
		.amdhsa_system_sgpr_workgroup_id_y 0
		.amdhsa_system_sgpr_workgroup_id_z 0
		.amdhsa_system_sgpr_workgroup_info 0
		.amdhsa_system_vgpr_workitem_id 0
		.amdhsa_next_free_vgpr 12
		.amdhsa_next_free_sgpr 16
		.amdhsa_reserve_vcc 1
		.amdhsa_float_round_mode_32 0
		.amdhsa_float_round_mode_16_64 0
		.amdhsa_float_denorm_mode_32 3
		.amdhsa_float_denorm_mode_16_64 3
		.amdhsa_dx10_clamp 1
		.amdhsa_ieee_mode 1
		.amdhsa_fp16_overflow 0
		.amdhsa_workgroup_processor_mode 1
		.amdhsa_memory_ordered 1
		.amdhsa_forward_progress 0
		.amdhsa_shared_vgpr_count 0
		.amdhsa_exception_fp_ieee_invalid_op 0
		.amdhsa_exception_fp_denorm_src 0
		.amdhsa_exception_fp_ieee_div_zero 0
		.amdhsa_exception_fp_ieee_overflow 0
		.amdhsa_exception_fp_ieee_underflow 0
		.amdhsa_exception_fp_ieee_inexact 0
		.amdhsa_exception_int_div_zero 0
	.end_amdhsa_kernel
	.section	.text._ZN4vllm17activation_kernelIfTnPFT_RKS1_EXadL_ZNS_17gelu_quick_kernelIfEES1_S3_EEEEvPS1_PS2_i,"axG",@progbits,_ZN4vllm17activation_kernelIfTnPFT_RKS1_EXadL_ZNS_17gelu_quick_kernelIfEES1_S3_EEEEvPS1_PS2_i,comdat
.Lfunc_end24:
	.size	_ZN4vllm17activation_kernelIfTnPFT_RKS1_EXadL_ZNS_17gelu_quick_kernelIfEES1_S3_EEEEvPS1_PS2_i, .Lfunc_end24-_ZN4vllm17activation_kernelIfTnPFT_RKS1_EXadL_ZNS_17gelu_quick_kernelIfEES1_S3_EEEEvPS1_PS2_i
                                        ; -- End function
	.section	.AMDGPU.csdata,"",@progbits
; Kernel info:
; codeLenInByte = 440
; NumSgprs: 18
; NumVgprs: 12
; ScratchSize: 0
; MemoryBound: 0
; FloatMode: 240
; IeeeMode: 1
; LDSByteSize: 0 bytes/workgroup (compile time only)
; SGPRBlocks: 2
; VGPRBlocks: 1
; NumSGPRsForWavesPerEU: 18
; NumVGPRsForWavesPerEU: 12
; Occupancy: 16
; WaveLimiterHint : 0
; COMPUTE_PGM_RSRC2:SCRATCH_EN: 0
; COMPUTE_PGM_RSRC2:USER_SGPR: 15
; COMPUTE_PGM_RSRC2:TRAP_HANDLER: 0
; COMPUTE_PGM_RSRC2:TGID_X_EN: 1
; COMPUTE_PGM_RSRC2:TGID_Y_EN: 0
; COMPUTE_PGM_RSRC2:TGID_Z_EN: 0
; COMPUTE_PGM_RSRC2:TIDIG_COMP_CNT: 0
	.section	.text._ZN4vllm17activation_kernelIN3c104HalfETnPFT_RKS3_EXadL_ZNS_17gelu_quick_kernelIS2_EES3_S5_EEEEvPS3_PS4_i,"axG",@progbits,_ZN4vllm17activation_kernelIN3c104HalfETnPFT_RKS3_EXadL_ZNS_17gelu_quick_kernelIS2_EES3_S5_EEEEvPS3_PS4_i,comdat
	.protected	_ZN4vllm17activation_kernelIN3c104HalfETnPFT_RKS3_EXadL_ZNS_17gelu_quick_kernelIS2_EES3_S5_EEEEvPS3_PS4_i ; -- Begin function _ZN4vllm17activation_kernelIN3c104HalfETnPFT_RKS3_EXadL_ZNS_17gelu_quick_kernelIS2_EES3_S5_EEEEvPS3_PS4_i
	.globl	_ZN4vllm17activation_kernelIN3c104HalfETnPFT_RKS3_EXadL_ZNS_17gelu_quick_kernelIS2_EES3_S5_EEEEvPS3_PS4_i
	.p2align	8
	.type	_ZN4vllm17activation_kernelIN3c104HalfETnPFT_RKS3_EXadL_ZNS_17gelu_quick_kernelIS2_EES3_S5_EEEEvPS3_PS4_i,@function
_ZN4vllm17activation_kernelIN3c104HalfETnPFT_RKS3_EXadL_ZNS_17gelu_quick_kernelIS2_EES3_S5_EEEEvPS3_PS4_i: ; @_ZN4vllm17activation_kernelIN3c104HalfETnPFT_RKS3_EXadL_ZNS_17gelu_quick_kernelIS2_EES3_S5_EEEEvPS3_PS4_i
; %bb.0:
	s_load_b32 s8, s[0:1], 0x10
	s_mov_b32 s2, exec_lo
	s_waitcnt lgkmcnt(0)
	v_cmpx_gt_i32_e64 s8, v0
	s_cbranch_execz .LBB25_12
; %bb.1:
	s_load_b32 s2, s[0:1], 0x24
	s_ashr_i32 s9, s8, 31
	s_waitcnt lgkmcnt(0)
	s_and_b32 s3, s2, 0xffff
	s_delay_alu instid0(SALU_CYCLE_1) | instskip(NEXT) | instid1(VALU_DEP_1)
	v_add_co_u32 v1, s2, v0, s3
	v_add_co_ci_u32_e64 v2, null, 0, 0, s2
	s_delay_alu instid0(VALU_DEP_1) | instskip(SKIP_1) | instid1(VALU_DEP_2)
	v_cmp_gt_i64_e64 s2, s[8:9], v[1:2]
	v_cmp_lt_i64_e32 vcc_lo, s[8:9], v[1:2]
	v_cndmask_b32_e64 v6, 0, 1, s2
	v_cndmask_b32_e32 v3, s9, v2, vcc_lo
	v_cndmask_b32_e32 v4, s8, v1, vcc_lo
	s_mov_b32 s2, exec_lo
	s_delay_alu instid0(VALU_DEP_3) | instskip(SKIP_2) | instid1(VALU_DEP_3)
	v_add_co_u32 v5, vcc_lo, v1, v6
	v_mov_b32_e32 v1, 0
	v_add_co_ci_u32_e32 v2, vcc_lo, 0, v2, vcc_lo
	v_sub_co_u32 v7, vcc_lo, v4, v5
                                        ; implicit-def: $vgpr4_vgpr5
	s_delay_alu instid0(VALU_DEP_2) | instskip(NEXT) | instid1(VALU_DEP_4)
	v_sub_co_ci_u32_e32 v3, vcc_lo, v3, v2, vcc_lo
	v_mov_b32_e32 v2, v1
	s_delay_alu instid0(VALU_DEP_1)
	v_cmpx_ne_u64_e32 0, v[2:3]
	s_xor_b32 s4, exec_lo, s2
	s_cbranch_execz .LBB25_3
; %bb.2:
	v_cvt_f32_u32_e32 v2, s3
	s_sub_u32 s2, 0, s3
	s_subb_u32 s5, 0, 0
	s_delay_alu instid0(VALU_DEP_1) | instskip(NEXT) | instid1(VALU_DEP_1)
	v_fmamk_f32 v2, 0, 0x4f800000, v2
	v_rcp_f32_e32 v2, v2
	s_waitcnt_depctr 0xfff
	v_mul_f32_e32 v2, 0x5f7ffffc, v2
	s_delay_alu instid0(VALU_DEP_1) | instskip(NEXT) | instid1(VALU_DEP_1)
	v_mul_f32_e32 v4, 0x2f800000, v2
	v_trunc_f32_e32 v4, v4
	s_delay_alu instid0(VALU_DEP_1) | instskip(SKIP_1) | instid1(VALU_DEP_2)
	v_fmamk_f32 v2, v4, 0xcf800000, v2
	v_cvt_u32_f32_e32 v4, v4
	v_cvt_u32_f32_e32 v2, v2
	s_delay_alu instid0(VALU_DEP_2) | instskip(NEXT) | instid1(VALU_DEP_2)
	v_mul_lo_u32 v5, s2, v4
	v_mul_hi_u32 v8, s2, v2
	v_mul_lo_u32 v9, s5, v2
	s_delay_alu instid0(VALU_DEP_2) | instskip(SKIP_1) | instid1(VALU_DEP_2)
	v_add_nc_u32_e32 v5, v8, v5
	v_mul_lo_u32 v8, s2, v2
	v_add_nc_u32_e32 v5, v5, v9
	s_delay_alu instid0(VALU_DEP_2) | instskip(NEXT) | instid1(VALU_DEP_2)
	v_mul_hi_u32 v9, v2, v8
	v_mul_lo_u32 v10, v2, v5
	v_mul_hi_u32 v11, v2, v5
	v_mul_hi_u32 v12, v4, v8
	v_mul_lo_u32 v8, v4, v8
	v_mul_hi_u32 v13, v4, v5
	v_mul_lo_u32 v5, v4, v5
	v_add_co_u32 v9, vcc_lo, v9, v10
	v_add_co_ci_u32_e32 v10, vcc_lo, 0, v11, vcc_lo
	s_delay_alu instid0(VALU_DEP_2) | instskip(NEXT) | instid1(VALU_DEP_2)
	v_add_co_u32 v8, vcc_lo, v9, v8
	v_add_co_ci_u32_e32 v8, vcc_lo, v10, v12, vcc_lo
	v_add_co_ci_u32_e32 v9, vcc_lo, 0, v13, vcc_lo
	s_delay_alu instid0(VALU_DEP_2) | instskip(NEXT) | instid1(VALU_DEP_2)
	v_add_co_u32 v5, vcc_lo, v8, v5
	v_add_co_ci_u32_e32 v8, vcc_lo, 0, v9, vcc_lo
	s_delay_alu instid0(VALU_DEP_2) | instskip(NEXT) | instid1(VALU_DEP_2)
	v_add_co_u32 v2, vcc_lo, v2, v5
	v_add_co_ci_u32_e32 v4, vcc_lo, v4, v8, vcc_lo
	s_delay_alu instid0(VALU_DEP_2) | instskip(SKIP_1) | instid1(VALU_DEP_3)
	v_mul_hi_u32 v5, s2, v2
	v_mul_lo_u32 v9, s5, v2
	v_mul_lo_u32 v8, s2, v4
	s_delay_alu instid0(VALU_DEP_1) | instskip(SKIP_1) | instid1(VALU_DEP_2)
	v_add_nc_u32_e32 v5, v5, v8
	v_mul_lo_u32 v8, s2, v2
	v_add_nc_u32_e32 v5, v5, v9
	s_delay_alu instid0(VALU_DEP_2) | instskip(NEXT) | instid1(VALU_DEP_2)
	v_mul_hi_u32 v9, v2, v8
	v_mul_lo_u32 v10, v2, v5
	v_mul_hi_u32 v11, v2, v5
	v_mul_hi_u32 v12, v4, v8
	v_mul_lo_u32 v8, v4, v8
	v_mul_hi_u32 v13, v4, v5
	v_mul_lo_u32 v5, v4, v5
	v_add_co_u32 v9, vcc_lo, v9, v10
	v_add_co_ci_u32_e32 v10, vcc_lo, 0, v11, vcc_lo
	s_delay_alu instid0(VALU_DEP_2) | instskip(NEXT) | instid1(VALU_DEP_2)
	v_add_co_u32 v8, vcc_lo, v9, v8
	v_add_co_ci_u32_e32 v8, vcc_lo, v10, v12, vcc_lo
	v_add_co_ci_u32_e32 v9, vcc_lo, 0, v13, vcc_lo
	s_delay_alu instid0(VALU_DEP_2) | instskip(NEXT) | instid1(VALU_DEP_2)
	v_add_co_u32 v5, vcc_lo, v8, v5
	v_add_co_ci_u32_e32 v8, vcc_lo, 0, v9, vcc_lo
	s_delay_alu instid0(VALU_DEP_2) | instskip(NEXT) | instid1(VALU_DEP_2)
	v_add_co_u32 v2, vcc_lo, v2, v5
	v_add_co_ci_u32_e32 v12, vcc_lo, v4, v8, vcc_lo
	s_delay_alu instid0(VALU_DEP_2) | instskip(SKIP_1) | instid1(VALU_DEP_3)
	v_mul_hi_u32 v13, v7, v2
	v_mad_u64_u32 v[8:9], null, v3, v2, 0
	v_mad_u64_u32 v[4:5], null, v7, v12, 0
	;; [unrolled: 1-line block ×3, first 2 shown]
	s_delay_alu instid0(VALU_DEP_2) | instskip(NEXT) | instid1(VALU_DEP_3)
	v_add_co_u32 v2, vcc_lo, v13, v4
	v_add_co_ci_u32_e32 v4, vcc_lo, 0, v5, vcc_lo
	s_delay_alu instid0(VALU_DEP_2) | instskip(NEXT) | instid1(VALU_DEP_2)
	v_add_co_u32 v2, vcc_lo, v2, v8
	v_add_co_ci_u32_e32 v2, vcc_lo, v4, v9, vcc_lo
	v_add_co_ci_u32_e32 v4, vcc_lo, 0, v11, vcc_lo
	s_delay_alu instid0(VALU_DEP_2) | instskip(NEXT) | instid1(VALU_DEP_2)
	v_add_co_u32 v10, vcc_lo, v2, v10
	v_add_co_ci_u32_e32 v11, vcc_lo, 0, v4, vcc_lo
	s_delay_alu instid0(VALU_DEP_2) | instskip(NEXT) | instid1(VALU_DEP_1)
	v_mad_u64_u32 v[4:5], null, s3, v10, 0
	v_mov_b32_e32 v2, v5
	s_delay_alu instid0(VALU_DEP_1) | instskip(NEXT) | instid1(VALU_DEP_3)
	v_mad_u64_u32 v[8:9], null, s3, v11, v[2:3]
	v_sub_co_u32 v2, vcc_lo, v7, v4
	s_delay_alu instid0(VALU_DEP_2) | instskip(NEXT) | instid1(VALU_DEP_2)
	v_sub_co_ci_u32_e32 v3, vcc_lo, v3, v8, vcc_lo
	v_sub_co_u32 v4, vcc_lo, v2, s3
	s_delay_alu instid0(VALU_DEP_2) | instskip(NEXT) | instid1(VALU_DEP_2)
	v_subrev_co_ci_u32_e32 v5, vcc_lo, 0, v3, vcc_lo
	v_cmp_le_u32_e32 vcc_lo, s3, v4
	v_cmp_eq_u32_e64 s2, 0, v3
	v_cndmask_b32_e64 v4, 0, -1, vcc_lo
	v_add_co_u32 v7, vcc_lo, v10, 2
	v_add_co_ci_u32_e32 v8, vcc_lo, 0, v11, vcc_lo
	v_cmp_le_u32_e32 vcc_lo, s3, v2
	v_cndmask_b32_e64 v2, 0, -1, vcc_lo
	v_cmp_eq_u32_e32 vcc_lo, 0, v5
	s_delay_alu instid0(VALU_DEP_2) | instskip(SKIP_3) | instid1(VALU_DEP_3)
	v_cndmask_b32_e64 v2, -1, v2, s2
	v_cndmask_b32_e32 v4, -1, v4, vcc_lo
	v_add_co_u32 v5, vcc_lo, v10, 1
	v_add_co_ci_u32_e32 v9, vcc_lo, 0, v11, vcc_lo
	v_cmp_ne_u32_e32 vcc_lo, 0, v4
	s_delay_alu instid0(VALU_DEP_2) | instskip(NEXT) | instid1(VALU_DEP_4)
	v_cndmask_b32_e32 v3, v9, v8, vcc_lo
	v_cndmask_b32_e32 v4, v5, v7, vcc_lo
	v_cmp_ne_u32_e32 vcc_lo, 0, v2
                                        ; implicit-def: $vgpr7
	s_delay_alu instid0(VALU_DEP_2)
	v_dual_cndmask_b32 v5, v11, v3 :: v_dual_cndmask_b32 v4, v10, v4
.LBB25_3:
	s_or_saveexec_b32 s2, s4
	s_load_b128 s[4:7], s[0:1], 0x0
	s_xor_b32 exec_lo, exec_lo, s2
	s_cbranch_execz .LBB25_5
; %bb.4:
	v_cvt_f32_u32_e32 v2, s3
	s_sub_i32 s0, 0, s3
	s_delay_alu instid0(VALU_DEP_1) | instskip(SKIP_2) | instid1(VALU_DEP_1)
	v_rcp_iflag_f32_e32 v2, v2
	s_waitcnt_depctr 0xfff
	v_mul_f32_e32 v2, 0x4f7ffffe, v2
	v_cvt_u32_f32_e32 v2, v2
	s_delay_alu instid0(VALU_DEP_1) | instskip(NEXT) | instid1(VALU_DEP_1)
	v_mul_lo_u32 v3, s0, v2
	v_mul_hi_u32 v3, v2, v3
	s_delay_alu instid0(VALU_DEP_1) | instskip(NEXT) | instid1(VALU_DEP_1)
	v_add_nc_u32_e32 v2, v2, v3
	v_mul_hi_u32 v2, v7, v2
	s_delay_alu instid0(VALU_DEP_1) | instskip(SKIP_1) | instid1(VALU_DEP_2)
	v_mul_lo_u32 v3, v2, s3
	v_add_nc_u32_e32 v4, 1, v2
	v_sub_nc_u32_e32 v3, v7, v3
	s_delay_alu instid0(VALU_DEP_1) | instskip(SKIP_1) | instid1(VALU_DEP_2)
	v_subrev_nc_u32_e32 v5, s3, v3
	v_cmp_le_u32_e32 vcc_lo, s3, v3
	v_cndmask_b32_e32 v3, v3, v5, vcc_lo
	v_dual_mov_b32 v5, 0 :: v_dual_cndmask_b32 v2, v2, v4
	s_delay_alu instid0(VALU_DEP_2) | instskip(NEXT) | instid1(VALU_DEP_2)
	v_cmp_le_u32_e32 vcc_lo, s3, v3
	v_add_nc_u32_e32 v4, 1, v2
	s_delay_alu instid0(VALU_DEP_1)
	v_cndmask_b32_e32 v4, v2, v4, vcc_lo
.LBB25_5:
	s_or_b32 exec_lo, exec_lo, s2
	s_delay_alu instid0(VALU_DEP_1) | instskip(SKIP_2) | instid1(VALU_DEP_3)
	v_add_co_u32 v2, vcc_lo, v4, v6
	v_add_co_ci_u32_e32 v3, vcc_lo, 0, v5, vcc_lo
	v_cmp_eq_u16_e64 s0, s3, 1
	v_add_co_u32 v2, vcc_lo, v2, 1
	s_delay_alu instid0(VALU_DEP_3) | instskip(SKIP_3) | instid1(VALU_DEP_1)
	v_add_co_ci_u32_e32 v3, vcc_lo, 0, v3, vcc_lo
	s_mul_i32 s1, s9, s15
	s_mul_hi_u32 s10, s8, s15
	s_mul_i32 s2, s8, s15
	v_cmp_lt_u64_e32 vcc_lo, 1, v[2:3]
	s_add_i32 s1, s10, s1
	s_and_b32 s11, vcc_lo, s0
	s_mov_b32 s0, -1
	s_and_saveexec_b32 s10, s11
	s_cbranch_execz .LBB25_9
; %bb.6:
	v_add_co_u32 v6, s0, s2, v0
	s_delay_alu instid0(VALU_DEP_1) | instskip(SKIP_2) | instid1(VALU_DEP_2)
	v_add_co_ci_u32_e64 v7, null, s1, 0, s0
	v_dual_mov_b32 v5, v3 :: v_dual_and_b32 v4, -2, v2
	s_lshl_b32 s12, s3, 2
	v_lshlrev_b64 v[6:7], 1, v[6:7]
	s_mov_b32 s11, 0
	s_delay_alu instid0(VALU_DEP_2)
	v_dual_mov_b32 v9, v5 :: v_dual_mov_b32 v8, v4
.LBB25_7:                               ; =>This Inner Loop Header: Depth=1
	s_waitcnt lgkmcnt(0)
	s_delay_alu instid0(VALU_DEP_2) | instskip(NEXT) | instid1(VALU_DEP_3)
	v_add_co_u32 v10, vcc_lo, s6, v6
	v_add_co_ci_u32_e32 v11, vcc_lo, s7, v7, vcc_lo
	s_delay_alu instid0(VALU_DEP_3)
	v_add_co_u32 v8, vcc_lo, v8, -2
	v_add_co_ci_u32_e32 v9, vcc_lo, -1, v9, vcc_lo
	global_load_b32 v10, v[10:11], off
	s_waitcnt vmcnt(0)
	v_lshrrev_b32_e32 v11, 16, v10
	v_cvt_f32_f16_e32 v12, v10
	s_delay_alu instid0(VALU_DEP_2) | instskip(NEXT) | instid1(VALU_DEP_1)
	v_cvt_f32_f16_e32 v11, v11
	v_dual_mul_f32 v10, 0xbfd9db23, v12 :: v_dual_mul_f32 v13, 0xbfd9db23, v11
	s_delay_alu instid0(VALU_DEP_1) | instskip(SKIP_1) | instid1(VALU_DEP_3)
	v_mul_f32_e32 v14, 0x3fb8aa3b, v10
	v_cmp_ngt_f32_e32 vcc_lo, 0xc2ce8ed0, v10
	v_mul_f32_e32 v15, 0x3fb8aa3b, v13
	s_delay_alu instid0(VALU_DEP_3) | instskip(SKIP_2) | instid1(VALU_DEP_4)
	v_fma_f32 v16, 0x3fb8aa3b, v10, -v14
	v_rndne_f32_e32 v17, v14
	v_cmp_ngt_f32_e64 s0, 0xc2ce8ed0, v13
	v_fma_f32 v18, 0x3fb8aa3b, v13, -v15
	v_rndne_f32_e32 v19, v15
	v_fmac_f32_e32 v16, 0x32a5705f, v10
	s_delay_alu instid0(VALU_DEP_2) | instskip(SKIP_2) | instid1(VALU_DEP_2)
	v_dual_fmac_f32 v18, 0x32a5705f, v13 :: v_dual_sub_f32 v15, v15, v19
	v_sub_f32_e32 v14, v14, v17
	v_cvt_i32_f32_e32 v17, v17
	v_dual_add_f32 v15, v15, v18 :: v_dual_add_f32 v14, v14, v16
	v_cvt_i32_f32_e32 v16, v19
	s_delay_alu instid0(VALU_DEP_2) | instskip(NEXT) | instid1(VALU_DEP_2)
	v_exp_f32_e32 v15, v15
	v_exp_f32_e32 v14, v14
	s_waitcnt_depctr 0xfff
	v_ldexp_f32 v15, v15, v16
	v_ldexp_f32 v14, v14, v17
	s_delay_alu instid0(VALU_DEP_1) | instskip(SKIP_1) | instid1(VALU_DEP_4)
	v_cndmask_b32_e32 v14, 0, v14, vcc_lo
	v_cmp_nlt_f32_e32 vcc_lo, 0x42b17218, v10
	v_cndmask_b32_e64 v10, 0, v15, s0
	s_delay_alu instid0(VALU_DEP_3) | instskip(SKIP_1) | instid1(VALU_DEP_2)
	v_cndmask_b32_e32 v14, 0x7f800000, v14, vcc_lo
	v_cmp_nlt_f32_e32 vcc_lo, 0x42b17218, v13
	v_add_f32_e32 v13, 1.0, v14
	s_delay_alu instid0(VALU_DEP_4) | instskip(NEXT) | instid1(VALU_DEP_2)
	v_cndmask_b32_e32 v10, 0x7f800000, v10, vcc_lo
	v_div_scale_f32 v15, s0, v12, v13, v12
	s_delay_alu instid0(VALU_DEP_2) | instskip(SKIP_1) | instid1(VALU_DEP_2)
	v_add_f32_e32 v14, 1.0, v10
	v_div_scale_f32 v10, null, v13, v13, v12
	v_div_scale_f32 v16, null, v14, v14, v11
	s_delay_alu instid0(VALU_DEP_2) | instskip(SKIP_1) | instid1(VALU_DEP_2)
	v_rcp_f32_e32 v18, v10
	v_div_scale_f32 v19, vcc_lo, v11, v14, v11
	v_rcp_f32_e32 v17, v16
	s_waitcnt_depctr 0xfff
	v_fma_f32 v20, -v10, v18, 1.0
	v_fma_f32 v21, -v16, v17, 1.0
	s_delay_alu instid0(VALU_DEP_1) | instskip(NEXT) | instid1(VALU_DEP_1)
	v_dual_fmac_f32 v18, v20, v18 :: v_dual_fmac_f32 v17, v21, v17
	v_mul_f32_e32 v20, v15, v18
	s_delay_alu instid0(VALU_DEP_2) | instskip(NEXT) | instid1(VALU_DEP_2)
	v_mul_f32_e32 v21, v19, v17
	v_fma_f32 v22, -v10, v20, v15
	s_delay_alu instid0(VALU_DEP_2) | instskip(NEXT) | instid1(VALU_DEP_1)
	v_fma_f32 v23, -v16, v21, v19
	v_dual_fmac_f32 v20, v22, v18 :: v_dual_fmac_f32 v21, v23, v17
	s_delay_alu instid0(VALU_DEP_1) | instskip(NEXT) | instid1(VALU_DEP_2)
	v_fma_f32 v10, -v10, v20, v15
	v_fma_f32 v15, -v16, v21, v19
	s_delay_alu instid0(VALU_DEP_1) | instskip(SKIP_1) | instid1(VALU_DEP_3)
	v_div_fmas_f32 v15, v15, v17, v21
	s_mov_b32 vcc_lo, s0
	v_div_fmas_f32 v16, v10, v18, v20
	v_add_co_u32 v10, vcc_lo, s4, v6
	s_delay_alu instid0(VALU_DEP_3) | instskip(SKIP_1) | instid1(VALU_DEP_4)
	v_div_fixup_f32 v14, v15, v14, v11
	v_add_co_ci_u32_e32 v11, vcc_lo, s5, v7, vcc_lo
	v_div_fixup_f32 v12, v16, v13, v12
	v_cmp_eq_u64_e32 vcc_lo, 0, v[8:9]
	s_delay_alu instid0(VALU_DEP_4) | instskip(SKIP_1) | instid1(VALU_DEP_4)
	v_cvt_f16_f32_e32 v13, v14
	v_add_co_u32 v6, s0, v6, s12
	v_cvt_f16_f32_e32 v12, v12
	v_add_co_ci_u32_e64 v7, s0, 0, v7, s0
	s_or_b32 s11, vcc_lo, s11
	s_delay_alu instid0(VALU_DEP_2)
	v_pack_b32_f16 v12, v12, v13
	global_store_b32 v[10:11], v12, off
	s_and_not1_b32 exec_lo, exec_lo, s11
	s_cbranch_execnz .LBB25_7
; %bb.8:
	s_or_b32 exec_lo, exec_lo, s11
	v_mad_u64_u32 v[6:7], null, v4, s3, v[0:1]
	v_cmp_ne_u64_e32 vcc_lo, v[2:3], v[4:5]
	s_or_not1_b32 s0, vcc_lo, exec_lo
	s_delay_alu instid0(VALU_DEP_2) | instskip(NEXT) | instid1(VALU_DEP_1)
	v_mov_b32_e32 v0, v7
	v_mad_u64_u32 v[7:8], null, v5, s3, v[0:1]
	s_delay_alu instid0(VALU_DEP_1)
	v_dual_mov_b32 v0, v6 :: v_dual_mov_b32 v1, v7
.LBB25_9:
	s_or_b32 exec_lo, exec_lo, s10
	s_delay_alu instid0(SALU_CYCLE_1)
	s_and_b32 exec_lo, exec_lo, s0
	s_cbranch_execz .LBB25_12
; %bb.10:
	s_delay_alu instid0(VALU_DEP_1) | instskip(SKIP_3) | instid1(VALU_DEP_1)
	v_add_co_u32 v2, vcc_lo, v0, s2
	v_add_co_ci_u32_e32 v3, vcc_lo, s1, v1, vcc_lo
	s_lshl_b32 s1, s3, 1
	s_mov_b32 s2, 0
	v_lshlrev_b64 v[2:3], 1, v[2:3]
.LBB25_11:                              ; =>This Inner Loop Header: Depth=1
	s_waitcnt lgkmcnt(0)
	s_delay_alu instid0(VALU_DEP_1) | instskip(NEXT) | instid1(VALU_DEP_2)
	v_add_co_u32 v4, vcc_lo, s6, v2
	v_add_co_ci_u32_e32 v5, vcc_lo, s7, v3, vcc_lo
	v_add_co_u32 v0, s0, v0, s3
	s_delay_alu instid0(VALU_DEP_1) | instskip(SKIP_3) | instid1(VALU_DEP_1)
	v_add_co_ci_u32_e64 v1, s0, 0, v1, s0
	global_load_u16 v4, v[4:5], off
	s_waitcnt vmcnt(0)
	v_cvt_f32_f16_e32 v6, v4
	v_mul_f32_e32 v4, 0xbfd9db23, v6
	s_delay_alu instid0(VALU_DEP_1) | instskip(NEXT) | instid1(VALU_DEP_1)
	v_mul_f32_e32 v5, 0x3fb8aa3b, v4
	v_fma_f32 v7, 0x3fb8aa3b, v4, -v5
	v_rndne_f32_e32 v8, v5
	s_delay_alu instid0(VALU_DEP_1) | instskip(NEXT) | instid1(VALU_DEP_3)
	v_sub_f32_e32 v5, v5, v8
	v_fmac_f32_e32 v7, 0x32a5705f, v4
	v_cmp_ngt_f32_e32 vcc_lo, 0xc2ce8ed0, v4
	s_delay_alu instid0(VALU_DEP_2) | instskip(SKIP_1) | instid1(VALU_DEP_2)
	v_add_f32_e32 v5, v5, v7
	v_cvt_i32_f32_e32 v7, v8
	v_exp_f32_e32 v5, v5
	s_waitcnt_depctr 0xfff
	v_ldexp_f32 v5, v5, v7
	s_delay_alu instid0(VALU_DEP_1) | instskip(SKIP_1) | instid1(VALU_DEP_2)
	v_cndmask_b32_e32 v5, 0, v5, vcc_lo
	v_cmp_nlt_f32_e32 vcc_lo, 0x42b17218, v4
	v_cndmask_b32_e32 v4, 0x7f800000, v5, vcc_lo
	s_delay_alu instid0(VALU_DEP_1) | instskip(NEXT) | instid1(VALU_DEP_1)
	v_add_f32_e32 v7, 1.0, v4
	v_div_scale_f32 v4, null, v7, v7, v6
	v_div_scale_f32 v9, vcc_lo, v6, v7, v6
	s_delay_alu instid0(VALU_DEP_2) | instskip(SKIP_2) | instid1(VALU_DEP_1)
	v_rcp_f32_e32 v5, v4
	s_waitcnt_depctr 0xfff
	v_fma_f32 v8, -v4, v5, 1.0
	v_fmac_f32_e32 v5, v8, v5
	s_delay_alu instid0(VALU_DEP_1) | instskip(NEXT) | instid1(VALU_DEP_1)
	v_mul_f32_e32 v8, v9, v5
	v_fma_f32 v10, -v4, v8, v9
	s_delay_alu instid0(VALU_DEP_1) | instskip(NEXT) | instid1(VALU_DEP_1)
	v_fmac_f32_e32 v8, v10, v5
	v_fma_f32 v4, -v4, v8, v9
	s_delay_alu instid0(VALU_DEP_1) | instskip(SKIP_2) | instid1(VALU_DEP_3)
	v_div_fmas_f32 v8, v4, v5, v8
	v_add_co_u32 v4, vcc_lo, s4, v2
	v_add_co_ci_u32_e32 v5, vcc_lo, s5, v3, vcc_lo
	v_div_fixup_f32 v6, v8, v7, v6
	v_cmp_le_i64_e32 vcc_lo, s[8:9], v[0:1]
	v_add_co_u32 v2, s0, v2, s1
	s_delay_alu instid0(VALU_DEP_1) | instskip(NEXT) | instid1(VALU_DEP_4)
	v_add_co_ci_u32_e64 v3, s0, 0, v3, s0
	v_cvt_f16_f32_e32 v6, v6
	s_or_b32 s2, vcc_lo, s2
	global_store_b16 v[4:5], v6, off
	s_and_not1_b32 exec_lo, exec_lo, s2
	s_cbranch_execnz .LBB25_11
.LBB25_12:
	s_nop 0
	s_sendmsg sendmsg(MSG_DEALLOC_VGPRS)
	s_endpgm
	.section	.rodata,"a",@progbits
	.p2align	6, 0x0
	.amdhsa_kernel _ZN4vllm17activation_kernelIN3c104HalfETnPFT_RKS3_EXadL_ZNS_17gelu_quick_kernelIS2_EES3_S5_EEEEvPS3_PS4_i
		.amdhsa_group_segment_fixed_size 0
		.amdhsa_private_segment_fixed_size 0
		.amdhsa_kernarg_size 280
		.amdhsa_user_sgpr_count 15
		.amdhsa_user_sgpr_dispatch_ptr 0
		.amdhsa_user_sgpr_queue_ptr 0
		.amdhsa_user_sgpr_kernarg_segment_ptr 1
		.amdhsa_user_sgpr_dispatch_id 0
		.amdhsa_user_sgpr_private_segment_size 0
		.amdhsa_wavefront_size32 1
		.amdhsa_uses_dynamic_stack 0
		.amdhsa_enable_private_segment 0
		.amdhsa_system_sgpr_workgroup_id_x 1
		.amdhsa_system_sgpr_workgroup_id_y 0
		.amdhsa_system_sgpr_workgroup_id_z 0
		.amdhsa_system_sgpr_workgroup_info 0
		.amdhsa_system_vgpr_workitem_id 0
		.amdhsa_next_free_vgpr 24
		.amdhsa_next_free_sgpr 16
		.amdhsa_reserve_vcc 1
		.amdhsa_float_round_mode_32 0
		.amdhsa_float_round_mode_16_64 0
		.amdhsa_float_denorm_mode_32 3
		.amdhsa_float_denorm_mode_16_64 3
		.amdhsa_dx10_clamp 1
		.amdhsa_ieee_mode 1
		.amdhsa_fp16_overflow 0
		.amdhsa_workgroup_processor_mode 1
		.amdhsa_memory_ordered 1
		.amdhsa_forward_progress 0
		.amdhsa_shared_vgpr_count 0
		.amdhsa_exception_fp_ieee_invalid_op 0
		.amdhsa_exception_fp_denorm_src 0
		.amdhsa_exception_fp_ieee_div_zero 0
		.amdhsa_exception_fp_ieee_overflow 0
		.amdhsa_exception_fp_ieee_underflow 0
		.amdhsa_exception_fp_ieee_inexact 0
		.amdhsa_exception_int_div_zero 0
	.end_amdhsa_kernel
	.section	.text._ZN4vllm17activation_kernelIN3c104HalfETnPFT_RKS3_EXadL_ZNS_17gelu_quick_kernelIS2_EES3_S5_EEEEvPS3_PS4_i,"axG",@progbits,_ZN4vllm17activation_kernelIN3c104HalfETnPFT_RKS3_EXadL_ZNS_17gelu_quick_kernelIS2_EES3_S5_EEEEvPS3_PS4_i,comdat
.Lfunc_end25:
	.size	_ZN4vllm17activation_kernelIN3c104HalfETnPFT_RKS3_EXadL_ZNS_17gelu_quick_kernelIS2_EES3_S5_EEEEvPS3_PS4_i, .Lfunc_end25-_ZN4vllm17activation_kernelIN3c104HalfETnPFT_RKS3_EXadL_ZNS_17gelu_quick_kernelIS2_EES3_S5_EEEEvPS3_PS4_i
                                        ; -- End function
	.section	.AMDGPU.csdata,"",@progbits
; Kernel info:
; codeLenInByte = 2116
; NumSgprs: 18
; NumVgprs: 24
; ScratchSize: 0
; MemoryBound: 0
; FloatMode: 240
; IeeeMode: 1
; LDSByteSize: 0 bytes/workgroup (compile time only)
; SGPRBlocks: 2
; VGPRBlocks: 2
; NumSGPRsForWavesPerEU: 18
; NumVGPRsForWavesPerEU: 24
; Occupancy: 16
; WaveLimiterHint : 0
; COMPUTE_PGM_RSRC2:SCRATCH_EN: 0
; COMPUTE_PGM_RSRC2:USER_SGPR: 15
; COMPUTE_PGM_RSRC2:TRAP_HANDLER: 0
; COMPUTE_PGM_RSRC2:TGID_X_EN: 1
; COMPUTE_PGM_RSRC2:TGID_Y_EN: 0
; COMPUTE_PGM_RSRC2:TGID_Z_EN: 0
; COMPUTE_PGM_RSRC2:TIDIG_COMP_CNT: 0
	.section	.text._ZN4vllm17activation_kernelIN3c108BFloat16ETnPFT_RKS3_EXadL_ZNS_17gelu_quick_kernelIS2_EES3_S5_EEEEvPS3_PS4_i,"axG",@progbits,_ZN4vllm17activation_kernelIN3c108BFloat16ETnPFT_RKS3_EXadL_ZNS_17gelu_quick_kernelIS2_EES3_S5_EEEEvPS3_PS4_i,comdat
	.protected	_ZN4vllm17activation_kernelIN3c108BFloat16ETnPFT_RKS3_EXadL_ZNS_17gelu_quick_kernelIS2_EES3_S5_EEEEvPS3_PS4_i ; -- Begin function _ZN4vllm17activation_kernelIN3c108BFloat16ETnPFT_RKS3_EXadL_ZNS_17gelu_quick_kernelIS2_EES3_S5_EEEEvPS3_PS4_i
	.globl	_ZN4vllm17activation_kernelIN3c108BFloat16ETnPFT_RKS3_EXadL_ZNS_17gelu_quick_kernelIS2_EES3_S5_EEEEvPS3_PS4_i
	.p2align	8
	.type	_ZN4vllm17activation_kernelIN3c108BFloat16ETnPFT_RKS3_EXadL_ZNS_17gelu_quick_kernelIS2_EES3_S5_EEEEvPS3_PS4_i,@function
_ZN4vllm17activation_kernelIN3c108BFloat16ETnPFT_RKS3_EXadL_ZNS_17gelu_quick_kernelIS2_EES3_S5_EEEEvPS3_PS4_i: ; @_ZN4vllm17activation_kernelIN3c108BFloat16ETnPFT_RKS3_EXadL_ZNS_17gelu_quick_kernelIS2_EES3_S5_EEEEvPS3_PS4_i
; %bb.0:
	s_load_b32 s8, s[0:1], 0x10
	s_mov_b32 s2, exec_lo
	s_waitcnt lgkmcnt(0)
	v_cmpx_gt_i32_e64 s8, v0
	s_cbranch_execz .LBB26_12
; %bb.1:
	s_load_b32 s2, s[0:1], 0x24
	s_ashr_i32 s9, s8, 31
	s_waitcnt lgkmcnt(0)
	s_and_b32 s3, s2, 0xffff
	s_delay_alu instid0(SALU_CYCLE_1) | instskip(NEXT) | instid1(VALU_DEP_1)
	v_add_co_u32 v1, s2, v0, s3
	v_add_co_ci_u32_e64 v2, null, 0, 0, s2
	s_delay_alu instid0(VALU_DEP_1) | instskip(SKIP_1) | instid1(VALU_DEP_2)
	v_cmp_gt_i64_e64 s2, s[8:9], v[1:2]
	v_cmp_lt_i64_e32 vcc_lo, s[8:9], v[1:2]
	v_cndmask_b32_e64 v6, 0, 1, s2
	v_cndmask_b32_e32 v3, s9, v2, vcc_lo
	v_cndmask_b32_e32 v4, s8, v1, vcc_lo
	s_mov_b32 s2, exec_lo
	s_delay_alu instid0(VALU_DEP_3) | instskip(SKIP_2) | instid1(VALU_DEP_3)
	v_add_co_u32 v5, vcc_lo, v1, v6
	v_mov_b32_e32 v1, 0
	v_add_co_ci_u32_e32 v2, vcc_lo, 0, v2, vcc_lo
	v_sub_co_u32 v7, vcc_lo, v4, v5
                                        ; implicit-def: $vgpr4_vgpr5
	s_delay_alu instid0(VALU_DEP_2) | instskip(NEXT) | instid1(VALU_DEP_4)
	v_sub_co_ci_u32_e32 v3, vcc_lo, v3, v2, vcc_lo
	v_mov_b32_e32 v2, v1
	s_delay_alu instid0(VALU_DEP_1)
	v_cmpx_ne_u64_e32 0, v[2:3]
	s_xor_b32 s4, exec_lo, s2
	s_cbranch_execz .LBB26_3
; %bb.2:
	v_cvt_f32_u32_e32 v2, s3
	s_sub_u32 s2, 0, s3
	s_subb_u32 s5, 0, 0
	s_delay_alu instid0(VALU_DEP_1) | instskip(NEXT) | instid1(VALU_DEP_1)
	v_fmamk_f32 v2, 0, 0x4f800000, v2
	v_rcp_f32_e32 v2, v2
	s_waitcnt_depctr 0xfff
	v_mul_f32_e32 v2, 0x5f7ffffc, v2
	s_delay_alu instid0(VALU_DEP_1) | instskip(NEXT) | instid1(VALU_DEP_1)
	v_mul_f32_e32 v4, 0x2f800000, v2
	v_trunc_f32_e32 v4, v4
	s_delay_alu instid0(VALU_DEP_1) | instskip(SKIP_1) | instid1(VALU_DEP_2)
	v_fmamk_f32 v2, v4, 0xcf800000, v2
	v_cvt_u32_f32_e32 v4, v4
	v_cvt_u32_f32_e32 v2, v2
	s_delay_alu instid0(VALU_DEP_2) | instskip(NEXT) | instid1(VALU_DEP_2)
	v_mul_lo_u32 v5, s2, v4
	v_mul_hi_u32 v8, s2, v2
	v_mul_lo_u32 v9, s5, v2
	s_delay_alu instid0(VALU_DEP_2) | instskip(SKIP_1) | instid1(VALU_DEP_2)
	v_add_nc_u32_e32 v5, v8, v5
	v_mul_lo_u32 v8, s2, v2
	v_add_nc_u32_e32 v5, v5, v9
	s_delay_alu instid0(VALU_DEP_2) | instskip(NEXT) | instid1(VALU_DEP_2)
	v_mul_hi_u32 v9, v2, v8
	v_mul_lo_u32 v10, v2, v5
	v_mul_hi_u32 v11, v2, v5
	v_mul_hi_u32 v12, v4, v8
	v_mul_lo_u32 v8, v4, v8
	v_mul_hi_u32 v13, v4, v5
	v_mul_lo_u32 v5, v4, v5
	v_add_co_u32 v9, vcc_lo, v9, v10
	v_add_co_ci_u32_e32 v10, vcc_lo, 0, v11, vcc_lo
	s_delay_alu instid0(VALU_DEP_2) | instskip(NEXT) | instid1(VALU_DEP_2)
	v_add_co_u32 v8, vcc_lo, v9, v8
	v_add_co_ci_u32_e32 v8, vcc_lo, v10, v12, vcc_lo
	v_add_co_ci_u32_e32 v9, vcc_lo, 0, v13, vcc_lo
	s_delay_alu instid0(VALU_DEP_2) | instskip(NEXT) | instid1(VALU_DEP_2)
	v_add_co_u32 v5, vcc_lo, v8, v5
	v_add_co_ci_u32_e32 v8, vcc_lo, 0, v9, vcc_lo
	s_delay_alu instid0(VALU_DEP_2) | instskip(NEXT) | instid1(VALU_DEP_2)
	v_add_co_u32 v2, vcc_lo, v2, v5
	v_add_co_ci_u32_e32 v4, vcc_lo, v4, v8, vcc_lo
	s_delay_alu instid0(VALU_DEP_2) | instskip(SKIP_1) | instid1(VALU_DEP_3)
	v_mul_hi_u32 v5, s2, v2
	v_mul_lo_u32 v9, s5, v2
	v_mul_lo_u32 v8, s2, v4
	s_delay_alu instid0(VALU_DEP_1) | instskip(SKIP_1) | instid1(VALU_DEP_2)
	v_add_nc_u32_e32 v5, v5, v8
	v_mul_lo_u32 v8, s2, v2
	v_add_nc_u32_e32 v5, v5, v9
	s_delay_alu instid0(VALU_DEP_2) | instskip(NEXT) | instid1(VALU_DEP_2)
	v_mul_hi_u32 v9, v2, v8
	v_mul_lo_u32 v10, v2, v5
	v_mul_hi_u32 v11, v2, v5
	v_mul_hi_u32 v12, v4, v8
	v_mul_lo_u32 v8, v4, v8
	v_mul_hi_u32 v13, v4, v5
	v_mul_lo_u32 v5, v4, v5
	v_add_co_u32 v9, vcc_lo, v9, v10
	v_add_co_ci_u32_e32 v10, vcc_lo, 0, v11, vcc_lo
	s_delay_alu instid0(VALU_DEP_2) | instskip(NEXT) | instid1(VALU_DEP_2)
	v_add_co_u32 v8, vcc_lo, v9, v8
	v_add_co_ci_u32_e32 v8, vcc_lo, v10, v12, vcc_lo
	v_add_co_ci_u32_e32 v9, vcc_lo, 0, v13, vcc_lo
	s_delay_alu instid0(VALU_DEP_2) | instskip(NEXT) | instid1(VALU_DEP_2)
	v_add_co_u32 v5, vcc_lo, v8, v5
	v_add_co_ci_u32_e32 v8, vcc_lo, 0, v9, vcc_lo
	s_delay_alu instid0(VALU_DEP_2) | instskip(NEXT) | instid1(VALU_DEP_2)
	v_add_co_u32 v2, vcc_lo, v2, v5
	v_add_co_ci_u32_e32 v12, vcc_lo, v4, v8, vcc_lo
	s_delay_alu instid0(VALU_DEP_2) | instskip(SKIP_1) | instid1(VALU_DEP_3)
	v_mul_hi_u32 v13, v7, v2
	v_mad_u64_u32 v[8:9], null, v3, v2, 0
	v_mad_u64_u32 v[4:5], null, v7, v12, 0
	;; [unrolled: 1-line block ×3, first 2 shown]
	s_delay_alu instid0(VALU_DEP_2) | instskip(NEXT) | instid1(VALU_DEP_3)
	v_add_co_u32 v2, vcc_lo, v13, v4
	v_add_co_ci_u32_e32 v4, vcc_lo, 0, v5, vcc_lo
	s_delay_alu instid0(VALU_DEP_2) | instskip(NEXT) | instid1(VALU_DEP_2)
	v_add_co_u32 v2, vcc_lo, v2, v8
	v_add_co_ci_u32_e32 v2, vcc_lo, v4, v9, vcc_lo
	v_add_co_ci_u32_e32 v4, vcc_lo, 0, v11, vcc_lo
	s_delay_alu instid0(VALU_DEP_2) | instskip(NEXT) | instid1(VALU_DEP_2)
	v_add_co_u32 v10, vcc_lo, v2, v10
	v_add_co_ci_u32_e32 v11, vcc_lo, 0, v4, vcc_lo
	s_delay_alu instid0(VALU_DEP_2) | instskip(NEXT) | instid1(VALU_DEP_1)
	v_mad_u64_u32 v[4:5], null, s3, v10, 0
	v_mov_b32_e32 v2, v5
	s_delay_alu instid0(VALU_DEP_1) | instskip(NEXT) | instid1(VALU_DEP_3)
	v_mad_u64_u32 v[8:9], null, s3, v11, v[2:3]
	v_sub_co_u32 v2, vcc_lo, v7, v4
	s_delay_alu instid0(VALU_DEP_2) | instskip(NEXT) | instid1(VALU_DEP_2)
	v_sub_co_ci_u32_e32 v3, vcc_lo, v3, v8, vcc_lo
	v_sub_co_u32 v4, vcc_lo, v2, s3
	s_delay_alu instid0(VALU_DEP_2) | instskip(NEXT) | instid1(VALU_DEP_2)
	v_subrev_co_ci_u32_e32 v5, vcc_lo, 0, v3, vcc_lo
	v_cmp_le_u32_e32 vcc_lo, s3, v4
	v_cmp_eq_u32_e64 s2, 0, v3
	v_cndmask_b32_e64 v4, 0, -1, vcc_lo
	v_add_co_u32 v7, vcc_lo, v10, 2
	v_add_co_ci_u32_e32 v8, vcc_lo, 0, v11, vcc_lo
	v_cmp_le_u32_e32 vcc_lo, s3, v2
	v_cndmask_b32_e64 v2, 0, -1, vcc_lo
	v_cmp_eq_u32_e32 vcc_lo, 0, v5
	s_delay_alu instid0(VALU_DEP_2) | instskip(SKIP_3) | instid1(VALU_DEP_3)
	v_cndmask_b32_e64 v2, -1, v2, s2
	v_cndmask_b32_e32 v4, -1, v4, vcc_lo
	v_add_co_u32 v5, vcc_lo, v10, 1
	v_add_co_ci_u32_e32 v9, vcc_lo, 0, v11, vcc_lo
	v_cmp_ne_u32_e32 vcc_lo, 0, v4
	s_delay_alu instid0(VALU_DEP_2) | instskip(NEXT) | instid1(VALU_DEP_4)
	v_cndmask_b32_e32 v3, v9, v8, vcc_lo
	v_cndmask_b32_e32 v4, v5, v7, vcc_lo
	v_cmp_ne_u32_e32 vcc_lo, 0, v2
                                        ; implicit-def: $vgpr7
	s_delay_alu instid0(VALU_DEP_2)
	v_dual_cndmask_b32 v5, v11, v3 :: v_dual_cndmask_b32 v4, v10, v4
.LBB26_3:
	s_or_saveexec_b32 s2, s4
	s_load_b128 s[4:7], s[0:1], 0x0
	s_xor_b32 exec_lo, exec_lo, s2
	s_cbranch_execz .LBB26_5
; %bb.4:
	v_cvt_f32_u32_e32 v2, s3
	s_sub_i32 s0, 0, s3
	s_delay_alu instid0(VALU_DEP_1) | instskip(SKIP_2) | instid1(VALU_DEP_1)
	v_rcp_iflag_f32_e32 v2, v2
	s_waitcnt_depctr 0xfff
	v_mul_f32_e32 v2, 0x4f7ffffe, v2
	v_cvt_u32_f32_e32 v2, v2
	s_delay_alu instid0(VALU_DEP_1) | instskip(NEXT) | instid1(VALU_DEP_1)
	v_mul_lo_u32 v3, s0, v2
	v_mul_hi_u32 v3, v2, v3
	s_delay_alu instid0(VALU_DEP_1) | instskip(NEXT) | instid1(VALU_DEP_1)
	v_add_nc_u32_e32 v2, v2, v3
	v_mul_hi_u32 v2, v7, v2
	s_delay_alu instid0(VALU_DEP_1) | instskip(SKIP_1) | instid1(VALU_DEP_2)
	v_mul_lo_u32 v3, v2, s3
	v_add_nc_u32_e32 v4, 1, v2
	v_sub_nc_u32_e32 v3, v7, v3
	s_delay_alu instid0(VALU_DEP_1) | instskip(SKIP_1) | instid1(VALU_DEP_2)
	v_subrev_nc_u32_e32 v5, s3, v3
	v_cmp_le_u32_e32 vcc_lo, s3, v3
	v_cndmask_b32_e32 v3, v3, v5, vcc_lo
	v_dual_mov_b32 v5, 0 :: v_dual_cndmask_b32 v2, v2, v4
	s_delay_alu instid0(VALU_DEP_2) | instskip(NEXT) | instid1(VALU_DEP_2)
	v_cmp_le_u32_e32 vcc_lo, s3, v3
	v_add_nc_u32_e32 v4, 1, v2
	s_delay_alu instid0(VALU_DEP_1)
	v_cndmask_b32_e32 v4, v2, v4, vcc_lo
.LBB26_5:
	s_or_b32 exec_lo, exec_lo, s2
	s_delay_alu instid0(VALU_DEP_1) | instskip(SKIP_2) | instid1(VALU_DEP_3)
	v_add_co_u32 v2, vcc_lo, v4, v6
	v_add_co_ci_u32_e32 v3, vcc_lo, 0, v5, vcc_lo
	v_cmp_eq_u16_e64 s0, s3, 1
	v_add_co_u32 v2, vcc_lo, v2, 1
	s_delay_alu instid0(VALU_DEP_3) | instskip(SKIP_3) | instid1(VALU_DEP_1)
	v_add_co_ci_u32_e32 v3, vcc_lo, 0, v3, vcc_lo
	s_mul_i32 s1, s9, s15
	s_mul_hi_u32 s10, s8, s15
	s_mul_i32 s2, s8, s15
	v_cmp_lt_u64_e32 vcc_lo, 1, v[2:3]
	s_add_i32 s1, s10, s1
	s_and_b32 s11, vcc_lo, s0
	s_mov_b32 s0, -1
	s_and_saveexec_b32 s10, s11
	s_cbranch_execz .LBB26_9
; %bb.6:
	v_add_co_u32 v6, s0, s2, v0
	s_delay_alu instid0(VALU_DEP_1) | instskip(SKIP_2) | instid1(VALU_DEP_2)
	v_add_co_ci_u32_e64 v7, null, s1, 0, s0
	v_dual_mov_b32 v5, v3 :: v_dual_and_b32 v4, -2, v2
	s_lshl_b32 s12, s3, 2
	v_lshlrev_b64 v[6:7], 1, v[6:7]
	s_mov_b32 s11, 0
	s_delay_alu instid0(VALU_DEP_2)
	v_dual_mov_b32 v9, v5 :: v_dual_mov_b32 v8, v4
.LBB26_7:                               ; =>This Inner Loop Header: Depth=1
	s_waitcnt lgkmcnt(0)
	s_delay_alu instid0(VALU_DEP_2) | instskip(NEXT) | instid1(VALU_DEP_3)
	v_add_co_u32 v10, vcc_lo, s6, v6
	v_add_co_ci_u32_e32 v11, vcc_lo, s7, v7, vcc_lo
	global_load_b32 v10, v[10:11], off
	s_waitcnt vmcnt(0)
	v_lshlrev_b32_e32 v11, 16, v10
	v_and_b32_e32 v12, 0xffff0000, v10
	s_delay_alu instid0(VALU_DEP_1) | instskip(NEXT) | instid1(VALU_DEP_1)
	v_dual_mul_f32 v10, 0xbfd9db23, v11 :: v_dual_mul_f32 v13, 0xbfd9db23, v12
	v_dual_mul_f32 v14, 0x3fb8aa3b, v10 :: v_dual_mul_f32 v15, 0x3fb8aa3b, v13
	v_cmp_ngt_f32_e32 vcc_lo, 0xc2ce8ed0, v13
	v_cmp_ngt_f32_e64 s0, 0xc2ce8ed0, v10
	s_delay_alu instid0(VALU_DEP_3) | instskip(SKIP_3) | instid1(VALU_DEP_4)
	v_fma_f32 v16, 0x3fb8aa3b, v10, -v14
	v_rndne_f32_e32 v17, v14
	v_fma_f32 v18, 0x3fb8aa3b, v13, -v15
	v_rndne_f32_e32 v19, v15
	v_fmac_f32_e32 v16, 0x32a5705f, v10
	s_delay_alu instid0(VALU_DEP_4) | instskip(NEXT) | instid1(VALU_DEP_3)
	v_sub_f32_e32 v14, v14, v17
	v_dual_fmac_f32 v18, 0x32a5705f, v13 :: v_dual_sub_f32 v15, v15, v19
	s_delay_alu instid0(VALU_DEP_2) | instskip(SKIP_1) | instid1(VALU_DEP_3)
	v_add_f32_e32 v14, v14, v16
	v_cvt_i32_f32_e32 v16, v17
	v_add_f32_e32 v15, v15, v18
	v_cvt_i32_f32_e32 v17, v19
	s_delay_alu instid0(VALU_DEP_4) | instskip(NEXT) | instid1(VALU_DEP_2)
	v_exp_f32_e32 v14, v14
	v_exp_f32_e32 v15, v15
	s_waitcnt_depctr 0xfff
	v_ldexp_f32 v14, v14, v16
	v_ldexp_f32 v15, v15, v17
	s_delay_alu instid0(VALU_DEP_2) | instskip(SKIP_1) | instid1(VALU_DEP_3)
	v_cndmask_b32_e64 v14, 0, v14, s0
	v_cmp_nlt_f32_e64 s0, 0x42b17218, v10
	v_cndmask_b32_e32 v15, 0, v15, vcc_lo
	v_cmp_nlt_f32_e32 vcc_lo, 0x42b17218, v13
	s_delay_alu instid0(VALU_DEP_3) | instskip(NEXT) | instid1(VALU_DEP_1)
	v_cndmask_b32_e64 v10, 0x7f800000, v14, s0
	v_dual_cndmask_b32 v13, 0x7f800000, v15 :: v_dual_add_f32 v14, 1.0, v10
	s_delay_alu instid0(VALU_DEP_1) | instskip(SKIP_1) | instid1(VALU_DEP_2)
	v_div_scale_f32 v10, null, v14, v14, v11
	v_div_scale_f32 v18, vcc_lo, v11, v14, v11
	v_rcp_f32_e32 v16, v10
	s_waitcnt_depctr 0xfff
	v_fma_f32 v20, -v10, v16, 1.0
	s_delay_alu instid0(VALU_DEP_1) | instskip(NEXT) | instid1(VALU_DEP_1)
	v_dual_add_f32 v13, 1.0, v13 :: v_dual_fmac_f32 v16, v20, v16
	v_div_scale_f32 v15, null, v13, v13, v12
	v_div_scale_f32 v19, s0, v12, v13, v12
	s_delay_alu instid0(VALU_DEP_3) | instskip(NEXT) | instid1(VALU_DEP_3)
	v_mul_f32_e32 v20, v18, v16
	v_rcp_f32_e32 v17, v15
	s_delay_alu instid0(VALU_DEP_1) | instskip(NEXT) | instid1(VALU_DEP_1)
	v_fma_f32 v22, -v10, v20, v18
	v_fmac_f32_e32 v20, v22, v16
	s_waitcnt_depctr 0xfff
	v_fma_f32 v21, -v15, v17, 1.0
	v_fma_f32 v10, -v10, v20, v18
	s_delay_alu instid0(VALU_DEP_2) | instskip(NEXT) | instid1(VALU_DEP_2)
	v_fmac_f32_e32 v17, v21, v17
	v_div_fmas_f32 v16, v10, v16, v20
	s_delay_alu instid0(VALU_DEP_2) | instskip(SKIP_1) | instid1(VALU_DEP_2)
	v_mul_f32_e32 v21, v19, v17
	s_mov_b32 vcc_lo, s0
	v_div_fixup_f32 v14, v16, v14, v11
	s_delay_alu instid0(VALU_DEP_2) | instskip(NEXT) | instid1(VALU_DEP_1)
	v_fma_f32 v23, -v15, v21, v19
	v_fmac_f32_e32 v21, v23, v17
	s_delay_alu instid0(VALU_DEP_1) | instskip(NEXT) | instid1(VALU_DEP_1)
	v_fma_f32 v15, -v15, v21, v19
	v_div_fmas_f32 v15, v15, v17, v21
	v_add_co_u32 v10, vcc_lo, s4, v6
	v_add_co_ci_u32_e32 v11, vcc_lo, s5, v7, vcc_lo
	s_delay_alu instid0(VALU_DEP_3) | instskip(SKIP_3) | instid1(VALU_DEP_4)
	v_div_fixup_f32 v12, v15, v13, v12
	v_bfe_u32 v13, v14, 16, 1
	v_add_co_u32 v8, vcc_lo, v8, -2
	v_add_co_ci_u32_e32 v9, vcc_lo, -1, v9, vcc_lo
	v_bfe_u32 v15, v12, 16, 1
	s_delay_alu instid0(VALU_DEP_4) | instskip(SKIP_2) | instid1(VALU_DEP_4)
	v_add3_u32 v13, v14, v13, 0x7fff
	v_cmp_o_f32_e32 vcc_lo, v14, v14
	v_cmp_o_f32_e64 s0, v12, v12
	v_add3_u32 v15, v12, v15, 0x7fff
	s_delay_alu instid0(VALU_DEP_4) | instskip(NEXT) | instid1(VALU_DEP_2)
	v_lshrrev_b32_e32 v13, 16, v13
	v_lshrrev_b32_e32 v15, 16, v15
	s_delay_alu instid0(VALU_DEP_2) | instskip(SKIP_1) | instid1(VALU_DEP_3)
	v_cndmask_b32_e32 v12, 0x7fc0, v13, vcc_lo
	v_cmp_eq_u64_e32 vcc_lo, 0, v[8:9]
	v_cndmask_b32_e64 v13, 0x7fc0, v15, s0
	v_add_co_u32 v6, s0, v6, s12
	s_delay_alu instid0(VALU_DEP_1) | instskip(NEXT) | instid1(VALU_DEP_3)
	v_add_co_ci_u32_e64 v7, s0, 0, v7, s0
	v_perm_b32 v12, v13, v12, 0x5040100
	s_or_b32 s11, vcc_lo, s11
	global_store_b32 v[10:11], v12, off
	s_and_not1_b32 exec_lo, exec_lo, s11
	s_cbranch_execnz .LBB26_7
; %bb.8:
	s_or_b32 exec_lo, exec_lo, s11
	v_mad_u64_u32 v[6:7], null, v4, s3, v[0:1]
	v_cmp_ne_u64_e32 vcc_lo, v[2:3], v[4:5]
	s_or_not1_b32 s0, vcc_lo, exec_lo
	s_delay_alu instid0(VALU_DEP_2) | instskip(NEXT) | instid1(VALU_DEP_1)
	v_mov_b32_e32 v0, v7
	v_mad_u64_u32 v[7:8], null, v5, s3, v[0:1]
	s_delay_alu instid0(VALU_DEP_1)
	v_dual_mov_b32 v0, v6 :: v_dual_mov_b32 v1, v7
.LBB26_9:
	s_or_b32 exec_lo, exec_lo, s10
	s_delay_alu instid0(SALU_CYCLE_1)
	s_and_b32 exec_lo, exec_lo, s0
	s_cbranch_execz .LBB26_12
; %bb.10:
	s_delay_alu instid0(VALU_DEP_1) | instskip(SKIP_3) | instid1(VALU_DEP_1)
	v_add_co_u32 v2, vcc_lo, v0, s2
	v_add_co_ci_u32_e32 v3, vcc_lo, s1, v1, vcc_lo
	s_lshl_b32 s2, s3, 1
	s_mov_b32 s10, 0
	v_lshlrev_b64 v[2:3], 1, v[2:3]
.LBB26_11:                              ; =>This Inner Loop Header: Depth=1
	s_waitcnt lgkmcnt(0)
	s_delay_alu instid0(VALU_DEP_1) | instskip(NEXT) | instid1(VALU_DEP_2)
	v_add_co_u32 v4, vcc_lo, s6, v2
	v_add_co_ci_u32_e32 v5, vcc_lo, s7, v3, vcc_lo
	global_load_u16 v4, v[4:5], off
	s_waitcnt vmcnt(0)
	v_lshlrev_b32_e32 v4, 16, v4
	s_delay_alu instid0(VALU_DEP_1) | instskip(NEXT) | instid1(VALU_DEP_1)
	v_mul_f32_e32 v5, 0xbfd9db23, v4
	v_mul_f32_e32 v6, 0x3fb8aa3b, v5
	s_delay_alu instid0(VALU_DEP_1) | instskip(SKIP_1) | instid1(VALU_DEP_1)
	v_fma_f32 v7, 0x3fb8aa3b, v5, -v6
	v_rndne_f32_e32 v8, v6
	v_dual_fmac_f32 v7, 0x32a5705f, v5 :: v_dual_sub_f32 v6, v6, v8
	s_delay_alu instid0(VALU_DEP_1) | instskip(SKIP_2) | instid1(VALU_DEP_3)
	v_add_f32_e32 v6, v6, v7
	v_cvt_i32_f32_e32 v7, v8
	v_cmp_ngt_f32_e32 vcc_lo, 0xc2ce8ed0, v5
	v_exp_f32_e32 v6, v6
	s_waitcnt_depctr 0xfff
	v_ldexp_f32 v6, v6, v7
	s_delay_alu instid0(VALU_DEP_1) | instskip(SKIP_1) | instid1(VALU_DEP_2)
	v_cndmask_b32_e32 v6, 0, v6, vcc_lo
	v_cmp_nlt_f32_e32 vcc_lo, 0x42b17218, v5
	v_cndmask_b32_e32 v5, 0x7f800000, v6, vcc_lo
	s_delay_alu instid0(VALU_DEP_1) | instskip(NEXT) | instid1(VALU_DEP_1)
	v_add_f32_e32 v5, 1.0, v5
	v_div_scale_f32 v6, null, v5, v5, v4
	v_div_scale_f32 v9, vcc_lo, v4, v5, v4
	s_delay_alu instid0(VALU_DEP_2) | instskip(SKIP_2) | instid1(VALU_DEP_1)
	v_rcp_f32_e32 v7, v6
	s_waitcnt_depctr 0xfff
	v_fma_f32 v8, -v6, v7, 1.0
	v_fmac_f32_e32 v7, v8, v7
	s_delay_alu instid0(VALU_DEP_1) | instskip(NEXT) | instid1(VALU_DEP_1)
	v_mul_f32_e32 v8, v9, v7
	v_fma_f32 v10, -v6, v8, v9
	s_delay_alu instid0(VALU_DEP_1) | instskip(NEXT) | instid1(VALU_DEP_1)
	v_fmac_f32_e32 v8, v10, v7
	v_fma_f32 v6, -v6, v8, v9
	s_delay_alu instid0(VALU_DEP_1) | instskip(SKIP_2) | instid1(VALU_DEP_3)
	v_div_fmas_f32 v6, v6, v7, v8
	v_add_co_u32 v0, vcc_lo, v0, s3
	v_add_co_ci_u32_e32 v1, vcc_lo, 0, v1, vcc_lo
	v_div_fixup_f32 v6, v6, v5, v4
	s_delay_alu instid0(VALU_DEP_2) | instskip(NEXT) | instid1(VALU_DEP_2)
	v_cmp_le_i64_e64 s0, s[8:9], v[0:1]
	v_bfe_u32 v4, v6, 16, 1
	v_cmp_o_f32_e64 s1, v6, v6
	s_delay_alu instid0(VALU_DEP_3) | instskip(NEXT) | instid1(VALU_DEP_2)
	s_or_b32 s10, s0, s10
	v_add3_u32 v7, v6, v4, 0x7fff
	v_add_co_u32 v4, vcc_lo, s4, v2
	v_add_co_ci_u32_e32 v5, vcc_lo, s5, v3, vcc_lo
	s_delay_alu instid0(VALU_DEP_3) | instskip(SKIP_2) | instid1(VALU_DEP_3)
	v_lshrrev_b32_e32 v7, 16, v7
	v_add_co_u32 v2, vcc_lo, v2, s2
	v_add_co_ci_u32_e32 v3, vcc_lo, 0, v3, vcc_lo
	v_cndmask_b32_e64 v6, 0x7fc0, v7, s1
	global_store_b16 v[4:5], v6, off
	s_and_not1_b32 exec_lo, exec_lo, s10
	s_cbranch_execnz .LBB26_11
.LBB26_12:
	s_nop 0
	s_sendmsg sendmsg(MSG_DEALLOC_VGPRS)
	s_endpgm
	.section	.rodata,"a",@progbits
	.p2align	6, 0x0
	.amdhsa_kernel _ZN4vllm17activation_kernelIN3c108BFloat16ETnPFT_RKS3_EXadL_ZNS_17gelu_quick_kernelIS2_EES3_S5_EEEEvPS3_PS4_i
		.amdhsa_group_segment_fixed_size 0
		.amdhsa_private_segment_fixed_size 0
		.amdhsa_kernarg_size 280
		.amdhsa_user_sgpr_count 15
		.amdhsa_user_sgpr_dispatch_ptr 0
		.amdhsa_user_sgpr_queue_ptr 0
		.amdhsa_user_sgpr_kernarg_segment_ptr 1
		.amdhsa_user_sgpr_dispatch_id 0
		.amdhsa_user_sgpr_private_segment_size 0
		.amdhsa_wavefront_size32 1
		.amdhsa_uses_dynamic_stack 0
		.amdhsa_enable_private_segment 0
		.amdhsa_system_sgpr_workgroup_id_x 1
		.amdhsa_system_sgpr_workgroup_id_y 0
		.amdhsa_system_sgpr_workgroup_id_z 0
		.amdhsa_system_sgpr_workgroup_info 0
		.amdhsa_system_vgpr_workitem_id 0
		.amdhsa_next_free_vgpr 24
		.amdhsa_next_free_sgpr 16
		.amdhsa_reserve_vcc 1
		.amdhsa_float_round_mode_32 0
		.amdhsa_float_round_mode_16_64 0
		.amdhsa_float_denorm_mode_32 3
		.amdhsa_float_denorm_mode_16_64 3
		.amdhsa_dx10_clamp 1
		.amdhsa_ieee_mode 1
		.amdhsa_fp16_overflow 0
		.amdhsa_workgroup_processor_mode 1
		.amdhsa_memory_ordered 1
		.amdhsa_forward_progress 0
		.amdhsa_shared_vgpr_count 0
		.amdhsa_exception_fp_ieee_invalid_op 0
		.amdhsa_exception_fp_denorm_src 0
		.amdhsa_exception_fp_ieee_div_zero 0
		.amdhsa_exception_fp_ieee_overflow 0
		.amdhsa_exception_fp_ieee_underflow 0
		.amdhsa_exception_fp_ieee_inexact 0
		.amdhsa_exception_int_div_zero 0
	.end_amdhsa_kernel
	.section	.text._ZN4vllm17activation_kernelIN3c108BFloat16ETnPFT_RKS3_EXadL_ZNS_17gelu_quick_kernelIS2_EES3_S5_EEEEvPS3_PS4_i,"axG",@progbits,_ZN4vllm17activation_kernelIN3c108BFloat16ETnPFT_RKS3_EXadL_ZNS_17gelu_quick_kernelIS2_EES3_S5_EEEEvPS3_PS4_i,comdat
.Lfunc_end26:
	.size	_ZN4vllm17activation_kernelIN3c108BFloat16ETnPFT_RKS3_EXadL_ZNS_17gelu_quick_kernelIS2_EES3_S5_EEEEvPS3_PS4_i, .Lfunc_end26-_ZN4vllm17activation_kernelIN3c108BFloat16ETnPFT_RKS3_EXadL_ZNS_17gelu_quick_kernelIS2_EES3_S5_EEEEvPS3_PS4_i
                                        ; -- End function
	.section	.AMDGPU.csdata,"",@progbits
; Kernel info:
; codeLenInByte = 2244
; NumSgprs: 18
; NumVgprs: 24
; ScratchSize: 0
; MemoryBound: 0
; FloatMode: 240
; IeeeMode: 1
; LDSByteSize: 0 bytes/workgroup (compile time only)
; SGPRBlocks: 2
; VGPRBlocks: 2
; NumSGPRsForWavesPerEU: 18
; NumVGPRsForWavesPerEU: 24
; Occupancy: 16
; WaveLimiterHint : 0
; COMPUTE_PGM_RSRC2:SCRATCH_EN: 0
; COMPUTE_PGM_RSRC2:USER_SGPR: 15
; COMPUTE_PGM_RSRC2:TRAP_HANDLER: 0
; COMPUTE_PGM_RSRC2:TGID_X_EN: 1
; COMPUTE_PGM_RSRC2:TGID_Y_EN: 0
; COMPUTE_PGM_RSRC2:TGID_Z_EN: 0
; COMPUTE_PGM_RSRC2:TIDIG_COMP_CNT: 0
	.text
	.p2alignl 7, 3214868480
	.fill 96, 4, 3214868480
	.type	__hip_cuid_2d33832bb757d2da,@object ; @__hip_cuid_2d33832bb757d2da
	.section	.bss,"aw",@nobits
	.globl	__hip_cuid_2d33832bb757d2da
__hip_cuid_2d33832bb757d2da:
	.byte	0                               ; 0x0
	.size	__hip_cuid_2d33832bb757d2da, 1

	.ident	"AMD clang version 19.0.0git (https://github.com/RadeonOpenCompute/llvm-project roc-6.4.0 25133 c7fe45cf4b819c5991fe208aaa96edf142730f1d)"
	.section	".note.GNU-stack","",@progbits
	.addrsig
	.addrsig_sym __hip_cuid_2d33832bb757d2da
	.amdgpu_metadata
---
amdhsa.kernels:
  - .args:
      - .actual_access:  write_only
        .address_space:  global
        .offset:         0
        .size:           8
        .value_kind:     global_buffer
      - .actual_access:  read_only
        .address_space:  global
        .offset:         8
        .size:           8
        .value_kind:     global_buffer
      - .offset:         16
        .size:           4
        .value_kind:     by_value
      - .offset:         24
        .size:           4
        .value_kind:     hidden_block_count_x
      - .offset:         28
        .size:           4
        .value_kind:     hidden_block_count_y
      - .offset:         32
        .size:           4
        .value_kind:     hidden_block_count_z
      - .offset:         36
        .size:           2
        .value_kind:     hidden_group_size_x
      - .offset:         38
        .size:           2
        .value_kind:     hidden_group_size_y
      - .offset:         40
        .size:           2
        .value_kind:     hidden_group_size_z
      - .offset:         42
        .size:           2
        .value_kind:     hidden_remainder_x
      - .offset:         44
        .size:           2
        .value_kind:     hidden_remainder_y
      - .offset:         46
        .size:           2
        .value_kind:     hidden_remainder_z
      - .offset:         64
        .size:           8
        .value_kind:     hidden_global_offset_x
      - .offset:         72
        .size:           8
        .value_kind:     hidden_global_offset_y
      - .offset:         80
        .size:           8
        .value_kind:     hidden_global_offset_z
      - .offset:         88
        .size:           2
        .value_kind:     hidden_grid_dims
    .group_segment_fixed_size: 0
    .kernarg_segment_align: 8
    .kernarg_segment_size: 280
    .language:       OpenCL C
    .language_version:
      - 2
      - 0
    .max_flat_workgroup_size: 1024
    .name:           _ZN4vllm18act_and_mul_kernelIfTnPFT_RKS1_EXadL_ZNS_11silu_kernelIfEES1_S3_EELb1EEEvPS1_PS2_i
    .private_segment_fixed_size: 0
    .sgpr_count:     18
    .sgpr_spill_count: 0
    .symbol:         _ZN4vllm18act_and_mul_kernelIfTnPFT_RKS1_EXadL_ZNS_11silu_kernelIfEES1_S3_EELb1EEEvPS1_PS2_i.kd
    .uniform_work_group_size: 1
    .uses_dynamic_stack: false
    .vgpr_count:     12
    .vgpr_spill_count: 0
    .wavefront_size: 32
    .workgroup_processor_mode: 1
  - .args:
      - .actual_access:  write_only
        .address_space:  global
        .offset:         0
        .size:           8
        .value_kind:     global_buffer
      - .actual_access:  read_only
        .address_space:  global
        .offset:         8
        .size:           8
        .value_kind:     global_buffer
      - .offset:         16
        .size:           4
        .value_kind:     by_value
      - .offset:         24
        .size:           4
        .value_kind:     hidden_block_count_x
      - .offset:         28
        .size:           4
        .value_kind:     hidden_block_count_y
      - .offset:         32
        .size:           4
        .value_kind:     hidden_block_count_z
      - .offset:         36
        .size:           2
        .value_kind:     hidden_group_size_x
      - .offset:         38
        .size:           2
        .value_kind:     hidden_group_size_y
      - .offset:         40
        .size:           2
        .value_kind:     hidden_group_size_z
      - .offset:         42
        .size:           2
        .value_kind:     hidden_remainder_x
      - .offset:         44
        .size:           2
        .value_kind:     hidden_remainder_y
      - .offset:         46
        .size:           2
        .value_kind:     hidden_remainder_z
      - .offset:         64
        .size:           8
        .value_kind:     hidden_global_offset_x
      - .offset:         72
        .size:           8
        .value_kind:     hidden_global_offset_y
      - .offset:         80
        .size:           8
        .value_kind:     hidden_global_offset_z
      - .offset:         88
        .size:           2
        .value_kind:     hidden_grid_dims
    .group_segment_fixed_size: 0
    .kernarg_segment_align: 8
    .kernarg_segment_size: 280
    .language:       OpenCL C
    .language_version:
      - 2
      - 0
    .max_flat_workgroup_size: 1024
    .name:           _ZN4vllm18act_and_mul_kernelIN3c104HalfETnPFT_RKS3_EXadL_ZNS_11silu_kernelIS2_EES3_S5_EELb1EEEvPS3_PS4_i
    .private_segment_fixed_size: 0
    .sgpr_count:     18
    .sgpr_spill_count: 0
    .symbol:         _ZN4vllm18act_and_mul_kernelIN3c104HalfETnPFT_RKS3_EXadL_ZNS_11silu_kernelIS2_EES3_S5_EELb1EEEvPS3_PS4_i.kd
    .uniform_work_group_size: 1
    .uses_dynamic_stack: false
    .vgpr_count:     25
    .vgpr_spill_count: 0
    .wavefront_size: 32
    .workgroup_processor_mode: 1
  - .args:
      - .actual_access:  write_only
        .address_space:  global
        .offset:         0
        .size:           8
        .value_kind:     global_buffer
      - .actual_access:  read_only
        .address_space:  global
        .offset:         8
        .size:           8
        .value_kind:     global_buffer
      - .offset:         16
        .size:           4
        .value_kind:     by_value
      - .offset:         24
        .size:           4
        .value_kind:     hidden_block_count_x
      - .offset:         28
        .size:           4
        .value_kind:     hidden_block_count_y
      - .offset:         32
        .size:           4
        .value_kind:     hidden_block_count_z
      - .offset:         36
        .size:           2
        .value_kind:     hidden_group_size_x
      - .offset:         38
        .size:           2
        .value_kind:     hidden_group_size_y
      - .offset:         40
        .size:           2
        .value_kind:     hidden_group_size_z
      - .offset:         42
        .size:           2
        .value_kind:     hidden_remainder_x
      - .offset:         44
        .size:           2
        .value_kind:     hidden_remainder_y
      - .offset:         46
        .size:           2
        .value_kind:     hidden_remainder_z
      - .offset:         64
        .size:           8
        .value_kind:     hidden_global_offset_x
      - .offset:         72
        .size:           8
        .value_kind:     hidden_global_offset_y
      - .offset:         80
        .size:           8
        .value_kind:     hidden_global_offset_z
      - .offset:         88
        .size:           2
        .value_kind:     hidden_grid_dims
    .group_segment_fixed_size: 0
    .kernarg_segment_align: 8
    .kernarg_segment_size: 280
    .language:       OpenCL C
    .language_version:
      - 2
      - 0
    .max_flat_workgroup_size: 1024
    .name:           _ZN4vllm18act_and_mul_kernelIN3c108BFloat16ETnPFT_RKS3_EXadL_ZNS_11silu_kernelIS2_EES3_S5_EELb1EEEvPS3_PS4_i
    .private_segment_fixed_size: 0
    .sgpr_count:     18
    .sgpr_spill_count: 0
    .symbol:         _ZN4vllm18act_and_mul_kernelIN3c108BFloat16ETnPFT_RKS3_EXadL_ZNS_11silu_kernelIS2_EES3_S5_EELb1EEEvPS3_PS4_i.kd
    .uniform_work_group_size: 1
    .uses_dynamic_stack: false
    .vgpr_count:     25
    .vgpr_spill_count: 0
    .wavefront_size: 32
    .workgroup_processor_mode: 1
  - .args:
      - .actual_access:  write_only
        .address_space:  global
        .offset:         0
        .size:           8
        .value_kind:     global_buffer
      - .actual_access:  read_only
        .address_space:  global
        .offset:         8
        .size:           8
        .value_kind:     global_buffer
      - .offset:         16
        .size:           4
        .value_kind:     by_value
      - .offset:         24
        .size:           4
        .value_kind:     hidden_block_count_x
      - .offset:         28
        .size:           4
        .value_kind:     hidden_block_count_y
      - .offset:         32
        .size:           4
        .value_kind:     hidden_block_count_z
      - .offset:         36
        .size:           2
        .value_kind:     hidden_group_size_x
      - .offset:         38
        .size:           2
        .value_kind:     hidden_group_size_y
      - .offset:         40
        .size:           2
        .value_kind:     hidden_group_size_z
      - .offset:         42
        .size:           2
        .value_kind:     hidden_remainder_x
      - .offset:         44
        .size:           2
        .value_kind:     hidden_remainder_y
      - .offset:         46
        .size:           2
        .value_kind:     hidden_remainder_z
      - .offset:         64
        .size:           8
        .value_kind:     hidden_global_offset_x
      - .offset:         72
        .size:           8
        .value_kind:     hidden_global_offset_y
      - .offset:         80
        .size:           8
        .value_kind:     hidden_global_offset_z
      - .offset:         88
        .size:           2
        .value_kind:     hidden_grid_dims
    .group_segment_fixed_size: 0
    .kernarg_segment_align: 8
    .kernarg_segment_size: 280
    .language:       OpenCL C
    .language_version:
      - 2
      - 0
    .max_flat_workgroup_size: 1024
    .name:           _ZN4vllm18act_and_mul_kernelIfTnPFT_RKS1_EXadL_ZNS_11silu_kernelIfEES1_S3_EELb0EEEvPS1_PS2_i
    .private_segment_fixed_size: 0
    .sgpr_count:     18
    .sgpr_spill_count: 0
    .symbol:         _ZN4vllm18act_and_mul_kernelIfTnPFT_RKS1_EXadL_ZNS_11silu_kernelIfEES1_S3_EELb0EEEvPS1_PS2_i.kd
    .uniform_work_group_size: 1
    .uses_dynamic_stack: false
    .vgpr_count:     12
    .vgpr_spill_count: 0
    .wavefront_size: 32
    .workgroup_processor_mode: 1
  - .args:
      - .actual_access:  write_only
        .address_space:  global
        .offset:         0
        .size:           8
        .value_kind:     global_buffer
      - .actual_access:  read_only
        .address_space:  global
        .offset:         8
        .size:           8
        .value_kind:     global_buffer
      - .offset:         16
        .size:           4
        .value_kind:     by_value
      - .offset:         24
        .size:           4
        .value_kind:     hidden_block_count_x
      - .offset:         28
        .size:           4
        .value_kind:     hidden_block_count_y
      - .offset:         32
        .size:           4
        .value_kind:     hidden_block_count_z
      - .offset:         36
        .size:           2
        .value_kind:     hidden_group_size_x
      - .offset:         38
        .size:           2
        .value_kind:     hidden_group_size_y
      - .offset:         40
        .size:           2
        .value_kind:     hidden_group_size_z
      - .offset:         42
        .size:           2
        .value_kind:     hidden_remainder_x
      - .offset:         44
        .size:           2
        .value_kind:     hidden_remainder_y
      - .offset:         46
        .size:           2
        .value_kind:     hidden_remainder_z
      - .offset:         64
        .size:           8
        .value_kind:     hidden_global_offset_x
      - .offset:         72
        .size:           8
        .value_kind:     hidden_global_offset_y
      - .offset:         80
        .size:           8
        .value_kind:     hidden_global_offset_z
      - .offset:         88
        .size:           2
        .value_kind:     hidden_grid_dims
    .group_segment_fixed_size: 0
    .kernarg_segment_align: 8
    .kernarg_segment_size: 280
    .language:       OpenCL C
    .language_version:
      - 2
      - 0
    .max_flat_workgroup_size: 1024
    .name:           _ZN4vllm18act_and_mul_kernelIN3c104HalfETnPFT_RKS3_EXadL_ZNS_11silu_kernelIS2_EES3_S5_EELb0EEEvPS3_PS4_i
    .private_segment_fixed_size: 0
    .sgpr_count:     18
    .sgpr_spill_count: 0
    .symbol:         _ZN4vllm18act_and_mul_kernelIN3c104HalfETnPFT_RKS3_EXadL_ZNS_11silu_kernelIS2_EES3_S5_EELb0EEEvPS3_PS4_i.kd
    .uniform_work_group_size: 1
    .uses_dynamic_stack: false
    .vgpr_count:     25
    .vgpr_spill_count: 0
    .wavefront_size: 32
    .workgroup_processor_mode: 1
  - .args:
      - .actual_access:  write_only
        .address_space:  global
        .offset:         0
        .size:           8
        .value_kind:     global_buffer
      - .actual_access:  read_only
        .address_space:  global
        .offset:         8
        .size:           8
        .value_kind:     global_buffer
      - .offset:         16
        .size:           4
        .value_kind:     by_value
      - .offset:         24
        .size:           4
        .value_kind:     hidden_block_count_x
      - .offset:         28
        .size:           4
        .value_kind:     hidden_block_count_y
      - .offset:         32
        .size:           4
        .value_kind:     hidden_block_count_z
      - .offset:         36
        .size:           2
        .value_kind:     hidden_group_size_x
      - .offset:         38
        .size:           2
        .value_kind:     hidden_group_size_y
      - .offset:         40
        .size:           2
        .value_kind:     hidden_group_size_z
      - .offset:         42
        .size:           2
        .value_kind:     hidden_remainder_x
      - .offset:         44
        .size:           2
        .value_kind:     hidden_remainder_y
      - .offset:         46
        .size:           2
        .value_kind:     hidden_remainder_z
      - .offset:         64
        .size:           8
        .value_kind:     hidden_global_offset_x
      - .offset:         72
        .size:           8
        .value_kind:     hidden_global_offset_y
      - .offset:         80
        .size:           8
        .value_kind:     hidden_global_offset_z
      - .offset:         88
        .size:           2
        .value_kind:     hidden_grid_dims
    .group_segment_fixed_size: 0
    .kernarg_segment_align: 8
    .kernarg_segment_size: 280
    .language:       OpenCL C
    .language_version:
      - 2
      - 0
    .max_flat_workgroup_size: 1024
    .name:           _ZN4vllm18act_and_mul_kernelIN3c108BFloat16ETnPFT_RKS3_EXadL_ZNS_11silu_kernelIS2_EES3_S5_EELb0EEEvPS3_PS4_i
    .private_segment_fixed_size: 0
    .sgpr_count:     18
    .sgpr_spill_count: 0
    .symbol:         _ZN4vllm18act_and_mul_kernelIN3c108BFloat16ETnPFT_RKS3_EXadL_ZNS_11silu_kernelIS2_EES3_S5_EELb0EEEvPS3_PS4_i.kd
    .uniform_work_group_size: 1
    .uses_dynamic_stack: false
    .vgpr_count:     25
    .vgpr_spill_count: 0
    .wavefront_size: 32
    .workgroup_processor_mode: 1
  - .args:
      - .actual_access:  write_only
        .address_space:  global
        .offset:         0
        .size:           8
        .value_kind:     global_buffer
      - .actual_access:  read_only
        .address_space:  global
        .offset:         8
        .size:           8
        .value_kind:     global_buffer
      - .offset:         16
        .size:           4
        .value_kind:     by_value
      - .offset:         24
        .size:           4
        .value_kind:     hidden_block_count_x
      - .offset:         28
        .size:           4
        .value_kind:     hidden_block_count_y
      - .offset:         32
        .size:           4
        .value_kind:     hidden_block_count_z
      - .offset:         36
        .size:           2
        .value_kind:     hidden_group_size_x
      - .offset:         38
        .size:           2
        .value_kind:     hidden_group_size_y
      - .offset:         40
        .size:           2
        .value_kind:     hidden_group_size_z
      - .offset:         42
        .size:           2
        .value_kind:     hidden_remainder_x
      - .offset:         44
        .size:           2
        .value_kind:     hidden_remainder_y
      - .offset:         46
        .size:           2
        .value_kind:     hidden_remainder_z
      - .offset:         64
        .size:           8
        .value_kind:     hidden_global_offset_x
      - .offset:         72
        .size:           8
        .value_kind:     hidden_global_offset_y
      - .offset:         80
        .size:           8
        .value_kind:     hidden_global_offset_z
      - .offset:         88
        .size:           2
        .value_kind:     hidden_grid_dims
    .group_segment_fixed_size: 0
    .kernarg_segment_align: 8
    .kernarg_segment_size: 280
    .language:       OpenCL C
    .language_version:
      - 2
      - 0
    .max_flat_workgroup_size: 1024
    .name:           _ZN4vllm18act_and_mul_kernelIfTnPFT_RKS1_EXadL_ZNS_11gelu_kernelIfEES1_S3_EELb1EEEvPS1_PS2_i
    .private_segment_fixed_size: 0
    .sgpr_count:     18
    .sgpr_spill_count: 0
    .symbol:         _ZN4vllm18act_and_mul_kernelIfTnPFT_RKS1_EXadL_ZNS_11gelu_kernelIfEES1_S3_EELb1EEEvPS1_PS2_i.kd
    .uniform_work_group_size: 1
    .uses_dynamic_stack: false
    .vgpr_count:     11
    .vgpr_spill_count: 0
    .wavefront_size: 32
    .workgroup_processor_mode: 1
  - .args:
      - .actual_access:  write_only
        .address_space:  global
        .offset:         0
        .size:           8
        .value_kind:     global_buffer
      - .actual_access:  read_only
        .address_space:  global
        .offset:         8
        .size:           8
        .value_kind:     global_buffer
      - .offset:         16
        .size:           4
        .value_kind:     by_value
      - .offset:         24
        .size:           4
        .value_kind:     hidden_block_count_x
      - .offset:         28
        .size:           4
        .value_kind:     hidden_block_count_y
      - .offset:         32
        .size:           4
        .value_kind:     hidden_block_count_z
      - .offset:         36
        .size:           2
        .value_kind:     hidden_group_size_x
      - .offset:         38
        .size:           2
        .value_kind:     hidden_group_size_y
      - .offset:         40
        .size:           2
        .value_kind:     hidden_group_size_z
      - .offset:         42
        .size:           2
        .value_kind:     hidden_remainder_x
      - .offset:         44
        .size:           2
        .value_kind:     hidden_remainder_y
      - .offset:         46
        .size:           2
        .value_kind:     hidden_remainder_z
      - .offset:         64
        .size:           8
        .value_kind:     hidden_global_offset_x
      - .offset:         72
        .size:           8
        .value_kind:     hidden_global_offset_y
      - .offset:         80
        .size:           8
        .value_kind:     hidden_global_offset_z
      - .offset:         88
        .size:           2
        .value_kind:     hidden_grid_dims
    .group_segment_fixed_size: 0
    .kernarg_segment_align: 8
    .kernarg_segment_size: 280
    .language:       OpenCL C
    .language_version:
      - 2
      - 0
    .max_flat_workgroup_size: 1024
    .name:           _ZN4vllm18act_and_mul_kernelIN3c104HalfETnPFT_RKS3_EXadL_ZNS_11gelu_kernelIS2_EES3_S5_EELb1EEEvPS3_PS4_i
    .private_segment_fixed_size: 0
    .sgpr_count:     18
    .sgpr_spill_count: 0
    .symbol:         _ZN4vllm18act_and_mul_kernelIN3c104HalfETnPFT_RKS3_EXadL_ZNS_11gelu_kernelIS2_EES3_S5_EELb1EEEvPS3_PS4_i.kd
    .uniform_work_group_size: 1
    .uses_dynamic_stack: false
    .vgpr_count:     11
    .vgpr_spill_count: 0
    .wavefront_size: 32
    .workgroup_processor_mode: 1
  - .args:
      - .actual_access:  write_only
        .address_space:  global
        .offset:         0
        .size:           8
        .value_kind:     global_buffer
      - .actual_access:  read_only
        .address_space:  global
        .offset:         8
        .size:           8
        .value_kind:     global_buffer
      - .offset:         16
        .size:           4
        .value_kind:     by_value
      - .offset:         24
        .size:           4
        .value_kind:     hidden_block_count_x
      - .offset:         28
        .size:           4
        .value_kind:     hidden_block_count_y
      - .offset:         32
        .size:           4
        .value_kind:     hidden_block_count_z
      - .offset:         36
        .size:           2
        .value_kind:     hidden_group_size_x
      - .offset:         38
        .size:           2
        .value_kind:     hidden_group_size_y
      - .offset:         40
        .size:           2
        .value_kind:     hidden_group_size_z
      - .offset:         42
        .size:           2
        .value_kind:     hidden_remainder_x
      - .offset:         44
        .size:           2
        .value_kind:     hidden_remainder_y
      - .offset:         46
        .size:           2
        .value_kind:     hidden_remainder_z
      - .offset:         64
        .size:           8
        .value_kind:     hidden_global_offset_x
      - .offset:         72
        .size:           8
        .value_kind:     hidden_global_offset_y
      - .offset:         80
        .size:           8
        .value_kind:     hidden_global_offset_z
      - .offset:         88
        .size:           2
        .value_kind:     hidden_grid_dims
    .group_segment_fixed_size: 0
    .kernarg_segment_align: 8
    .kernarg_segment_size: 280
    .language:       OpenCL C
    .language_version:
      - 2
      - 0
    .max_flat_workgroup_size: 1024
    .name:           _ZN4vllm18act_and_mul_kernelIN3c108BFloat16ETnPFT_RKS3_EXadL_ZNS_11gelu_kernelIS2_EES3_S5_EELb1EEEvPS3_PS4_i
    .private_segment_fixed_size: 0
    .sgpr_count:     18
    .sgpr_spill_count: 0
    .symbol:         _ZN4vllm18act_and_mul_kernelIN3c108BFloat16ETnPFT_RKS3_EXadL_ZNS_11gelu_kernelIS2_EES3_S5_EELb1EEEvPS3_PS4_i.kd
    .uniform_work_group_size: 1
    .uses_dynamic_stack: false
    .vgpr_count:     27
    .vgpr_spill_count: 0
    .wavefront_size: 32
    .workgroup_processor_mode: 1
  - .args:
      - .actual_access:  write_only
        .address_space:  global
        .offset:         0
        .size:           8
        .value_kind:     global_buffer
      - .actual_access:  read_only
        .address_space:  global
        .offset:         8
        .size:           8
        .value_kind:     global_buffer
      - .offset:         16
        .size:           4
        .value_kind:     by_value
      - .offset:         24
        .size:           4
        .value_kind:     hidden_block_count_x
      - .offset:         28
        .size:           4
        .value_kind:     hidden_block_count_y
      - .offset:         32
        .size:           4
        .value_kind:     hidden_block_count_z
      - .offset:         36
        .size:           2
        .value_kind:     hidden_group_size_x
      - .offset:         38
        .size:           2
        .value_kind:     hidden_group_size_y
      - .offset:         40
        .size:           2
        .value_kind:     hidden_group_size_z
      - .offset:         42
        .size:           2
        .value_kind:     hidden_remainder_x
      - .offset:         44
        .size:           2
        .value_kind:     hidden_remainder_y
      - .offset:         46
        .size:           2
        .value_kind:     hidden_remainder_z
      - .offset:         64
        .size:           8
        .value_kind:     hidden_global_offset_x
      - .offset:         72
        .size:           8
        .value_kind:     hidden_global_offset_y
      - .offset:         80
        .size:           8
        .value_kind:     hidden_global_offset_z
      - .offset:         88
        .size:           2
        .value_kind:     hidden_grid_dims
    .group_segment_fixed_size: 0
    .kernarg_segment_align: 8
    .kernarg_segment_size: 280
    .language:       OpenCL C
    .language_version:
      - 2
      - 0
    .max_flat_workgroup_size: 1024
    .name:           _ZN4vllm18act_and_mul_kernelIfTnPFT_RKS1_EXadL_ZNS_16gelu_tanh_kernelIfEES1_S3_EELb1EEEvPS1_PS2_i
    .private_segment_fixed_size: 0
    .sgpr_count:     18
    .sgpr_spill_count: 0
    .symbol:         _ZN4vllm18act_and_mul_kernelIfTnPFT_RKS1_EXadL_ZNS_16gelu_tanh_kernelIfEES1_S3_EELb1EEEvPS1_PS2_i.kd
    .uniform_work_group_size: 1
    .uses_dynamic_stack: false
    .vgpr_count:     11
    .vgpr_spill_count: 0
    .wavefront_size: 32
    .workgroup_processor_mode: 1
  - .args:
      - .actual_access:  write_only
        .address_space:  global
        .offset:         0
        .size:           8
        .value_kind:     global_buffer
      - .actual_access:  read_only
        .address_space:  global
        .offset:         8
        .size:           8
        .value_kind:     global_buffer
      - .offset:         16
        .size:           4
        .value_kind:     by_value
      - .offset:         24
        .size:           4
        .value_kind:     hidden_block_count_x
      - .offset:         28
        .size:           4
        .value_kind:     hidden_block_count_y
      - .offset:         32
        .size:           4
        .value_kind:     hidden_block_count_z
      - .offset:         36
        .size:           2
        .value_kind:     hidden_group_size_x
      - .offset:         38
        .size:           2
        .value_kind:     hidden_group_size_y
      - .offset:         40
        .size:           2
        .value_kind:     hidden_group_size_z
      - .offset:         42
        .size:           2
        .value_kind:     hidden_remainder_x
      - .offset:         44
        .size:           2
        .value_kind:     hidden_remainder_y
      - .offset:         46
        .size:           2
        .value_kind:     hidden_remainder_z
      - .offset:         64
        .size:           8
        .value_kind:     hidden_global_offset_x
      - .offset:         72
        .size:           8
        .value_kind:     hidden_global_offset_y
      - .offset:         80
        .size:           8
        .value_kind:     hidden_global_offset_z
      - .offset:         88
        .size:           2
        .value_kind:     hidden_grid_dims
    .group_segment_fixed_size: 0
    .kernarg_segment_align: 8
    .kernarg_segment_size: 280
    .language:       OpenCL C
    .language_version:
      - 2
      - 0
    .max_flat_workgroup_size: 1024
    .name:           _ZN4vllm18act_and_mul_kernelIN3c104HalfETnPFT_RKS3_EXadL_ZNS_16gelu_tanh_kernelIS2_EES3_S5_EELb1EEEvPS3_PS4_i
    .private_segment_fixed_size: 0
    .sgpr_count:     18
    .sgpr_spill_count: 0
    .symbol:         _ZN4vllm18act_and_mul_kernelIN3c104HalfETnPFT_RKS3_EXadL_ZNS_16gelu_tanh_kernelIS2_EES3_S5_EELb1EEEvPS3_PS4_i.kd
    .uniform_work_group_size: 1
    .uses_dynamic_stack: false
    .vgpr_count:     11
    .vgpr_spill_count: 0
    .wavefront_size: 32
    .workgroup_processor_mode: 1
  - .args:
      - .actual_access:  write_only
        .address_space:  global
        .offset:         0
        .size:           8
        .value_kind:     global_buffer
      - .actual_access:  read_only
        .address_space:  global
        .offset:         8
        .size:           8
        .value_kind:     global_buffer
      - .offset:         16
        .size:           4
        .value_kind:     by_value
      - .offset:         24
        .size:           4
        .value_kind:     hidden_block_count_x
      - .offset:         28
        .size:           4
        .value_kind:     hidden_block_count_y
      - .offset:         32
        .size:           4
        .value_kind:     hidden_block_count_z
      - .offset:         36
        .size:           2
        .value_kind:     hidden_group_size_x
      - .offset:         38
        .size:           2
        .value_kind:     hidden_group_size_y
      - .offset:         40
        .size:           2
        .value_kind:     hidden_group_size_z
      - .offset:         42
        .size:           2
        .value_kind:     hidden_remainder_x
      - .offset:         44
        .size:           2
        .value_kind:     hidden_remainder_y
      - .offset:         46
        .size:           2
        .value_kind:     hidden_remainder_z
      - .offset:         64
        .size:           8
        .value_kind:     hidden_global_offset_x
      - .offset:         72
        .size:           8
        .value_kind:     hidden_global_offset_y
      - .offset:         80
        .size:           8
        .value_kind:     hidden_global_offset_z
      - .offset:         88
        .size:           2
        .value_kind:     hidden_grid_dims
    .group_segment_fixed_size: 0
    .kernarg_segment_align: 8
    .kernarg_segment_size: 280
    .language:       OpenCL C
    .language_version:
      - 2
      - 0
    .max_flat_workgroup_size: 1024
    .name:           _ZN4vllm18act_and_mul_kernelIN3c108BFloat16ETnPFT_RKS3_EXadL_ZNS_16gelu_tanh_kernelIS2_EES3_S5_EELb1EEEvPS3_PS4_i
    .private_segment_fixed_size: 0
    .sgpr_count:     18
    .sgpr_spill_count: 0
    .symbol:         _ZN4vllm18act_and_mul_kernelIN3c108BFloat16ETnPFT_RKS3_EXadL_ZNS_16gelu_tanh_kernelIS2_EES3_S5_EELb1EEEvPS3_PS4_i.kd
    .uniform_work_group_size: 1
    .uses_dynamic_stack: false
    .vgpr_count:     11
    .vgpr_spill_count: 0
    .wavefront_size: 32
    .workgroup_processor_mode: 1
  - .args:
      - .actual_access:  write_only
        .address_space:  global
        .offset:         0
        .size:           8
        .value_kind:     global_buffer
      - .actual_access:  read_only
        .address_space:  global
        .offset:         8
        .size:           8
        .value_kind:     global_buffer
      - .offset:         16
        .size:           4
        .value_kind:     by_value
      - .offset:         20
        .size:           4
        .value_kind:     by_value
      - .offset:         24
        .size:           4
        .value_kind:     hidden_block_count_x
      - .offset:         28
        .size:           4
        .value_kind:     hidden_block_count_y
      - .offset:         32
        .size:           4
        .value_kind:     hidden_block_count_z
      - .offset:         36
        .size:           2
        .value_kind:     hidden_group_size_x
      - .offset:         38
        .size:           2
        .value_kind:     hidden_group_size_y
      - .offset:         40
        .size:           2
        .value_kind:     hidden_group_size_z
      - .offset:         42
        .size:           2
        .value_kind:     hidden_remainder_x
      - .offset:         44
        .size:           2
        .value_kind:     hidden_remainder_y
      - .offset:         46
        .size:           2
        .value_kind:     hidden_remainder_z
      - .offset:         64
        .size:           8
        .value_kind:     hidden_global_offset_x
      - .offset:         72
        .size:           8
        .value_kind:     hidden_global_offset_y
      - .offset:         80
        .size:           8
        .value_kind:     hidden_global_offset_z
      - .offset:         88
        .size:           2
        .value_kind:     hidden_grid_dims
    .group_segment_fixed_size: 0
    .kernarg_segment_align: 8
    .kernarg_segment_size: 280
    .language:       OpenCL C
    .language_version:
      - 2
      - 0
    .max_flat_workgroup_size: 1024
    .name:           _ZN4vllm29act_and_mul_kernel_with_paramIfTnPFT_RKS1_fEXadL_ZNS_14fatrelu_kernelIfEES1_S3_fEEEEvPS1_PS2_if
    .private_segment_fixed_size: 0
    .sgpr_count:     18
    .sgpr_spill_count: 0
    .symbol:         _ZN4vllm29act_and_mul_kernel_with_paramIfTnPFT_RKS1_fEXadL_ZNS_14fatrelu_kernelIfEES1_S3_fEEEEvPS1_PS2_if.kd
    .uniform_work_group_size: 1
    .uses_dynamic_stack: false
    .vgpr_count:     9
    .vgpr_spill_count: 0
    .wavefront_size: 32
    .workgroup_processor_mode: 1
  - .args:
      - .actual_access:  write_only
        .address_space:  global
        .offset:         0
        .size:           8
        .value_kind:     global_buffer
      - .actual_access:  read_only
        .address_space:  global
        .offset:         8
        .size:           8
        .value_kind:     global_buffer
      - .offset:         16
        .size:           4
        .value_kind:     by_value
      - .offset:         20
        .size:           4
        .value_kind:     by_value
      - .offset:         24
        .size:           4
        .value_kind:     hidden_block_count_x
      - .offset:         28
        .size:           4
        .value_kind:     hidden_block_count_y
      - .offset:         32
        .size:           4
        .value_kind:     hidden_block_count_z
      - .offset:         36
        .size:           2
        .value_kind:     hidden_group_size_x
      - .offset:         38
        .size:           2
        .value_kind:     hidden_group_size_y
      - .offset:         40
        .size:           2
        .value_kind:     hidden_group_size_z
      - .offset:         42
        .size:           2
        .value_kind:     hidden_remainder_x
      - .offset:         44
        .size:           2
        .value_kind:     hidden_remainder_y
      - .offset:         46
        .size:           2
        .value_kind:     hidden_remainder_z
      - .offset:         64
        .size:           8
        .value_kind:     hidden_global_offset_x
      - .offset:         72
        .size:           8
        .value_kind:     hidden_global_offset_y
      - .offset:         80
        .size:           8
        .value_kind:     hidden_global_offset_z
      - .offset:         88
        .size:           2
        .value_kind:     hidden_grid_dims
    .group_segment_fixed_size: 0
    .kernarg_segment_align: 8
    .kernarg_segment_size: 280
    .language:       OpenCL C
    .language_version:
      - 2
      - 0
    .max_flat_workgroup_size: 1024
    .name:           _ZN4vllm29act_and_mul_kernel_with_paramIN3c104HalfETnPFT_RKS3_fEXadL_ZNS_14fatrelu_kernelIS2_EES3_S5_fEEEEvPS3_PS4_if
    .private_segment_fixed_size: 0
    .sgpr_count:     18
    .sgpr_spill_count: 0
    .symbol:         _ZN4vllm29act_and_mul_kernel_with_paramIN3c104HalfETnPFT_RKS3_fEXadL_ZNS_14fatrelu_kernelIS2_EES3_S5_fEEEEvPS3_PS4_if.kd
    .uniform_work_group_size: 1
    .uses_dynamic_stack: false
    .vgpr_count:     15
    .vgpr_spill_count: 0
    .wavefront_size: 32
    .workgroup_processor_mode: 1
  - .args:
      - .actual_access:  write_only
        .address_space:  global
        .offset:         0
        .size:           8
        .value_kind:     global_buffer
      - .actual_access:  read_only
        .address_space:  global
        .offset:         8
        .size:           8
        .value_kind:     global_buffer
      - .offset:         16
        .size:           4
        .value_kind:     by_value
      - .offset:         20
        .size:           4
        .value_kind:     by_value
      - .offset:         24
        .size:           4
        .value_kind:     hidden_block_count_x
      - .offset:         28
        .size:           4
        .value_kind:     hidden_block_count_y
      - .offset:         32
        .size:           4
        .value_kind:     hidden_block_count_z
      - .offset:         36
        .size:           2
        .value_kind:     hidden_group_size_x
      - .offset:         38
        .size:           2
        .value_kind:     hidden_group_size_y
      - .offset:         40
        .size:           2
        .value_kind:     hidden_group_size_z
      - .offset:         42
        .size:           2
        .value_kind:     hidden_remainder_x
      - .offset:         44
        .size:           2
        .value_kind:     hidden_remainder_y
      - .offset:         46
        .size:           2
        .value_kind:     hidden_remainder_z
      - .offset:         64
        .size:           8
        .value_kind:     hidden_global_offset_x
      - .offset:         72
        .size:           8
        .value_kind:     hidden_global_offset_y
      - .offset:         80
        .size:           8
        .value_kind:     hidden_global_offset_z
      - .offset:         88
        .size:           2
        .value_kind:     hidden_grid_dims
    .group_segment_fixed_size: 0
    .kernarg_segment_align: 8
    .kernarg_segment_size: 280
    .language:       OpenCL C
    .language_version:
      - 2
      - 0
    .max_flat_workgroup_size: 1024
    .name:           _ZN4vllm29act_and_mul_kernel_with_paramIN3c108BFloat16ETnPFT_RKS3_fEXadL_ZNS_14fatrelu_kernelIS2_EES3_S5_fEEEEvPS3_PS4_if
    .private_segment_fixed_size: 0
    .sgpr_count:     18
    .sgpr_spill_count: 0
    .symbol:         _ZN4vllm29act_and_mul_kernel_with_paramIN3c108BFloat16ETnPFT_RKS3_fEXadL_ZNS_14fatrelu_kernelIS2_EES3_S5_fEEEEvPS3_PS4_if.kd
    .uniform_work_group_size: 1
    .uses_dynamic_stack: false
    .vgpr_count:     17
    .vgpr_spill_count: 0
    .wavefront_size: 32
    .workgroup_processor_mode: 1
  - .args:
      - .actual_access:  write_only
        .address_space:  global
        .offset:         0
        .size:           8
        .value_kind:     global_buffer
      - .actual_access:  read_only
        .address_space:  global
        .offset:         8
        .size:           8
        .value_kind:     global_buffer
      - .offset:         16
        .size:           4
        .value_kind:     by_value
      - .offset:         20
        .size:           4
        .value_kind:     by_value
      - .offset:         24
        .size:           4
        .value_kind:     by_value
      - .offset:         32
        .size:           4
        .value_kind:     hidden_block_count_x
      - .offset:         36
        .size:           4
        .value_kind:     hidden_block_count_y
      - .offset:         40
        .size:           4
        .value_kind:     hidden_block_count_z
      - .offset:         44
        .size:           2
        .value_kind:     hidden_group_size_x
      - .offset:         46
        .size:           2
        .value_kind:     hidden_group_size_y
      - .offset:         48
        .size:           2
        .value_kind:     hidden_group_size_z
      - .offset:         50
        .size:           2
        .value_kind:     hidden_remainder_x
      - .offset:         52
        .size:           2
        .value_kind:     hidden_remainder_y
      - .offset:         54
        .size:           2
        .value_kind:     hidden_remainder_z
      - .offset:         72
        .size:           8
        .value_kind:     hidden_global_offset_x
      - .offset:         80
        .size:           8
        .value_kind:     hidden_global_offset_y
      - .offset:         88
        .size:           8
        .value_kind:     hidden_global_offset_z
      - .offset:         96
        .size:           2
        .value_kind:     hidden_grid_dims
    .group_segment_fixed_size: 0
    .kernarg_segment_align: 8
    .kernarg_segment_size: 288
    .language:       OpenCL C
    .language_version:
      - 2
      - 0
    .max_flat_workgroup_size: 1024
    .name:           _ZN4vllm24swigluoai_and_mul_kernelIfTnPFT_RKS1_S3_ffEXadL_ZNS_17swigluoai_and_mulIfEES1_S3_S3_ffEEEEvPS1_PS2_iff
    .private_segment_fixed_size: 0
    .sgpr_count:     22
    .sgpr_spill_count: 0
    .symbol:         _ZN4vllm24swigluoai_and_mul_kernelIfTnPFT_RKS1_S3_ffEXadL_ZNS_17swigluoai_and_mulIfEES1_S3_S3_ffEEEEvPS1_PS2_iff.kd
    .uniform_work_group_size: 1
    .uses_dynamic_stack: false
    .vgpr_count:     14
    .vgpr_spill_count: 0
    .wavefront_size: 32
    .workgroup_processor_mode: 1
  - .args:
      - .actual_access:  write_only
        .address_space:  global
        .offset:         0
        .size:           8
        .value_kind:     global_buffer
      - .actual_access:  read_only
        .address_space:  global
        .offset:         8
        .size:           8
        .value_kind:     global_buffer
      - .offset:         16
        .size:           4
        .value_kind:     by_value
      - .offset:         20
        .size:           4
        .value_kind:     by_value
      - .offset:         24
        .size:           4
        .value_kind:     by_value
      - .offset:         32
        .size:           4
        .value_kind:     hidden_block_count_x
      - .offset:         36
        .size:           4
        .value_kind:     hidden_block_count_y
      - .offset:         40
        .size:           4
        .value_kind:     hidden_block_count_z
      - .offset:         44
        .size:           2
        .value_kind:     hidden_group_size_x
      - .offset:         46
        .size:           2
        .value_kind:     hidden_group_size_y
      - .offset:         48
        .size:           2
        .value_kind:     hidden_group_size_z
      - .offset:         50
        .size:           2
        .value_kind:     hidden_remainder_x
      - .offset:         52
        .size:           2
        .value_kind:     hidden_remainder_y
      - .offset:         54
        .size:           2
        .value_kind:     hidden_remainder_z
      - .offset:         72
        .size:           8
        .value_kind:     hidden_global_offset_x
      - .offset:         80
        .size:           8
        .value_kind:     hidden_global_offset_y
      - .offset:         88
        .size:           8
        .value_kind:     hidden_global_offset_z
      - .offset:         96
        .size:           2
        .value_kind:     hidden_grid_dims
    .group_segment_fixed_size: 0
    .kernarg_segment_align: 8
    .kernarg_segment_size: 288
    .language:       OpenCL C
    .language_version:
      - 2
      - 0
    .max_flat_workgroup_size: 1024
    .name:           _ZN4vllm24swigluoai_and_mul_kernelIN3c104HalfETnPFT_RKS3_S5_ffEXadL_ZNS_17swigluoai_and_mulIS2_EES3_S5_S5_ffEEEEvPS3_PS4_iff
    .private_segment_fixed_size: 0
    .sgpr_count:     26
    .sgpr_spill_count: 0
    .symbol:         _ZN4vllm24swigluoai_and_mul_kernelIN3c104HalfETnPFT_RKS3_S5_ffEXadL_ZNS_17swigluoai_and_mulIS2_EES3_S5_S5_ffEEEEvPS3_PS4_iff.kd
    .uniform_work_group_size: 1
    .uses_dynamic_stack: false
    .vgpr_count:     30
    .vgpr_spill_count: 0
    .wavefront_size: 32
    .workgroup_processor_mode: 1
  - .args:
      - .actual_access:  write_only
        .address_space:  global
        .offset:         0
        .size:           8
        .value_kind:     global_buffer
      - .actual_access:  read_only
        .address_space:  global
        .offset:         8
        .size:           8
        .value_kind:     global_buffer
      - .offset:         16
        .size:           4
        .value_kind:     by_value
      - .offset:         20
        .size:           4
        .value_kind:     by_value
      - .offset:         24
        .size:           4
        .value_kind:     by_value
      - .offset:         32
        .size:           4
        .value_kind:     hidden_block_count_x
      - .offset:         36
        .size:           4
        .value_kind:     hidden_block_count_y
      - .offset:         40
        .size:           4
        .value_kind:     hidden_block_count_z
      - .offset:         44
        .size:           2
        .value_kind:     hidden_group_size_x
      - .offset:         46
        .size:           2
        .value_kind:     hidden_group_size_y
      - .offset:         48
        .size:           2
        .value_kind:     hidden_group_size_z
      - .offset:         50
        .size:           2
        .value_kind:     hidden_remainder_x
      - .offset:         52
        .size:           2
        .value_kind:     hidden_remainder_y
      - .offset:         54
        .size:           2
        .value_kind:     hidden_remainder_z
      - .offset:         72
        .size:           8
        .value_kind:     hidden_global_offset_x
      - .offset:         80
        .size:           8
        .value_kind:     hidden_global_offset_y
      - .offset:         88
        .size:           8
        .value_kind:     hidden_global_offset_z
      - .offset:         96
        .size:           2
        .value_kind:     hidden_grid_dims
    .group_segment_fixed_size: 0
    .kernarg_segment_align: 8
    .kernarg_segment_size: 288
    .language:       OpenCL C
    .language_version:
      - 2
      - 0
    .max_flat_workgroup_size: 1024
    .name:           _ZN4vllm24swigluoai_and_mul_kernelIN3c108BFloat16ETnPFT_RKS3_S5_ffEXadL_ZNS_17swigluoai_and_mulIS2_EES3_S5_S5_ffEEEEvPS3_PS4_iff
    .private_segment_fixed_size: 0
    .sgpr_count:     26
    .sgpr_spill_count: 0
    .symbol:         _ZN4vllm24swigluoai_and_mul_kernelIN3c108BFloat16ETnPFT_RKS3_S5_ffEXadL_ZNS_17swigluoai_and_mulIS2_EES3_S5_S5_ffEEEEvPS3_PS4_iff.kd
    .uniform_work_group_size: 1
    .uses_dynamic_stack: false
    .vgpr_count:     30
    .vgpr_spill_count: 0
    .wavefront_size: 32
    .workgroup_processor_mode: 1
  - .args:
      - .actual_access:  write_only
        .address_space:  global
        .offset:         0
        .size:           8
        .value_kind:     global_buffer
      - .actual_access:  read_only
        .address_space:  global
        .offset:         8
        .size:           8
        .value_kind:     global_buffer
      - .offset:         16
        .size:           4
        .value_kind:     by_value
      - .offset:         24
        .size:           4
        .value_kind:     hidden_block_count_x
      - .offset:         28
        .size:           4
        .value_kind:     hidden_block_count_y
      - .offset:         32
        .size:           4
        .value_kind:     hidden_block_count_z
      - .offset:         36
        .size:           2
        .value_kind:     hidden_group_size_x
      - .offset:         38
        .size:           2
        .value_kind:     hidden_group_size_y
      - .offset:         40
        .size:           2
        .value_kind:     hidden_group_size_z
      - .offset:         42
        .size:           2
        .value_kind:     hidden_remainder_x
      - .offset:         44
        .size:           2
        .value_kind:     hidden_remainder_y
      - .offset:         46
        .size:           2
        .value_kind:     hidden_remainder_z
      - .offset:         64
        .size:           8
        .value_kind:     hidden_global_offset_x
      - .offset:         72
        .size:           8
        .value_kind:     hidden_global_offset_y
      - .offset:         80
        .size:           8
        .value_kind:     hidden_global_offset_z
      - .offset:         88
        .size:           2
        .value_kind:     hidden_grid_dims
    .group_segment_fixed_size: 0
    .kernarg_segment_align: 8
    .kernarg_segment_size: 280
    .language:       OpenCL C
    .language_version:
      - 2
      - 0
    .max_flat_workgroup_size: 1024
    .name:           _ZN4vllm17activation_kernelIfTnPFT_RKS1_EXadL_ZNS_15gelu_new_kernelIfEES1_S3_EEEEvPS1_PS2_i
    .private_segment_fixed_size: 0
    .sgpr_count:     18
    .sgpr_spill_count: 0
    .symbol:         _ZN4vllm17activation_kernelIfTnPFT_RKS1_EXadL_ZNS_15gelu_new_kernelIfEES1_S3_EEEEvPS1_PS2_i.kd
    .uniform_work_group_size: 1
    .uses_dynamic_stack: false
    .vgpr_count:     10
    .vgpr_spill_count: 0
    .wavefront_size: 32
    .workgroup_processor_mode: 1
  - .args:
      - .actual_access:  write_only
        .address_space:  global
        .offset:         0
        .size:           8
        .value_kind:     global_buffer
      - .actual_access:  read_only
        .address_space:  global
        .offset:         8
        .size:           8
        .value_kind:     global_buffer
      - .offset:         16
        .size:           4
        .value_kind:     by_value
      - .offset:         24
        .size:           4
        .value_kind:     hidden_block_count_x
      - .offset:         28
        .size:           4
        .value_kind:     hidden_block_count_y
      - .offset:         32
        .size:           4
        .value_kind:     hidden_block_count_z
      - .offset:         36
        .size:           2
        .value_kind:     hidden_group_size_x
      - .offset:         38
        .size:           2
        .value_kind:     hidden_group_size_y
      - .offset:         40
        .size:           2
        .value_kind:     hidden_group_size_z
      - .offset:         42
        .size:           2
        .value_kind:     hidden_remainder_x
      - .offset:         44
        .size:           2
        .value_kind:     hidden_remainder_y
      - .offset:         46
        .size:           2
        .value_kind:     hidden_remainder_z
      - .offset:         64
        .size:           8
        .value_kind:     hidden_global_offset_x
      - .offset:         72
        .size:           8
        .value_kind:     hidden_global_offset_y
      - .offset:         80
        .size:           8
        .value_kind:     hidden_global_offset_z
      - .offset:         88
        .size:           2
        .value_kind:     hidden_grid_dims
    .group_segment_fixed_size: 0
    .kernarg_segment_align: 8
    .kernarg_segment_size: 280
    .language:       OpenCL C
    .language_version:
      - 2
      - 0
    .max_flat_workgroup_size: 1024
    .name:           _ZN4vllm17activation_kernelIN3c104HalfETnPFT_RKS3_EXadL_ZNS_15gelu_new_kernelIS2_EES3_S5_EEEEvPS3_PS4_i
    .private_segment_fixed_size: 0
    .sgpr_count:     18
    .sgpr_spill_count: 0
    .symbol:         _ZN4vllm17activation_kernelIN3c104HalfETnPFT_RKS3_EXadL_ZNS_15gelu_new_kernelIS2_EES3_S5_EEEEvPS3_PS4_i.kd
    .uniform_work_group_size: 1
    .uses_dynamic_stack: false
    .vgpr_count:     10
    .vgpr_spill_count: 0
    .wavefront_size: 32
    .workgroup_processor_mode: 1
  - .args:
      - .actual_access:  write_only
        .address_space:  global
        .offset:         0
        .size:           8
        .value_kind:     global_buffer
      - .actual_access:  read_only
        .address_space:  global
        .offset:         8
        .size:           8
        .value_kind:     global_buffer
      - .offset:         16
        .size:           4
        .value_kind:     by_value
      - .offset:         24
        .size:           4
        .value_kind:     hidden_block_count_x
      - .offset:         28
        .size:           4
        .value_kind:     hidden_block_count_y
      - .offset:         32
        .size:           4
        .value_kind:     hidden_block_count_z
      - .offset:         36
        .size:           2
        .value_kind:     hidden_group_size_x
      - .offset:         38
        .size:           2
        .value_kind:     hidden_group_size_y
      - .offset:         40
        .size:           2
        .value_kind:     hidden_group_size_z
      - .offset:         42
        .size:           2
        .value_kind:     hidden_remainder_x
      - .offset:         44
        .size:           2
        .value_kind:     hidden_remainder_y
      - .offset:         46
        .size:           2
        .value_kind:     hidden_remainder_z
      - .offset:         64
        .size:           8
        .value_kind:     hidden_global_offset_x
      - .offset:         72
        .size:           8
        .value_kind:     hidden_global_offset_y
      - .offset:         80
        .size:           8
        .value_kind:     hidden_global_offset_z
      - .offset:         88
        .size:           2
        .value_kind:     hidden_grid_dims
    .group_segment_fixed_size: 0
    .kernarg_segment_align: 8
    .kernarg_segment_size: 280
    .language:       OpenCL C
    .language_version:
      - 2
      - 0
    .max_flat_workgroup_size: 1024
    .name:           _ZN4vllm17activation_kernelIN3c108BFloat16ETnPFT_RKS3_EXadL_ZNS_15gelu_new_kernelIS2_EES3_S5_EEEEvPS3_PS4_i
    .private_segment_fixed_size: 0
    .sgpr_count:     18
    .sgpr_spill_count: 0
    .symbol:         _ZN4vllm17activation_kernelIN3c108BFloat16ETnPFT_RKS3_EXadL_ZNS_15gelu_new_kernelIS2_EES3_S5_EEEEvPS3_PS4_i.kd
    .uniform_work_group_size: 1
    .uses_dynamic_stack: false
    .vgpr_count:     10
    .vgpr_spill_count: 0
    .wavefront_size: 32
    .workgroup_processor_mode: 1
  - .args:
      - .actual_access:  write_only
        .address_space:  global
        .offset:         0
        .size:           8
        .value_kind:     global_buffer
      - .actual_access:  read_only
        .address_space:  global
        .offset:         8
        .size:           8
        .value_kind:     global_buffer
      - .offset:         16
        .size:           4
        .value_kind:     by_value
      - .offset:         24
        .size:           4
        .value_kind:     hidden_block_count_x
      - .offset:         28
        .size:           4
        .value_kind:     hidden_block_count_y
      - .offset:         32
        .size:           4
        .value_kind:     hidden_block_count_z
      - .offset:         36
        .size:           2
        .value_kind:     hidden_group_size_x
      - .offset:         38
        .size:           2
        .value_kind:     hidden_group_size_y
      - .offset:         40
        .size:           2
        .value_kind:     hidden_group_size_z
      - .offset:         42
        .size:           2
        .value_kind:     hidden_remainder_x
      - .offset:         44
        .size:           2
        .value_kind:     hidden_remainder_y
      - .offset:         46
        .size:           2
        .value_kind:     hidden_remainder_z
      - .offset:         64
        .size:           8
        .value_kind:     hidden_global_offset_x
      - .offset:         72
        .size:           8
        .value_kind:     hidden_global_offset_y
      - .offset:         80
        .size:           8
        .value_kind:     hidden_global_offset_z
      - .offset:         88
        .size:           2
        .value_kind:     hidden_grid_dims
    .group_segment_fixed_size: 0
    .kernarg_segment_align: 8
    .kernarg_segment_size: 280
    .language:       OpenCL C
    .language_version:
      - 2
      - 0
    .max_flat_workgroup_size: 1024
    .name:           _ZN4vllm17activation_kernelIfTnPFT_RKS1_EXadL_ZNS_16gelu_fast_kernelIfEES1_S3_EEEEvPS1_PS2_i
    .private_segment_fixed_size: 0
    .sgpr_count:     18
    .sgpr_spill_count: 0
    .symbol:         _ZN4vllm17activation_kernelIfTnPFT_RKS1_EXadL_ZNS_16gelu_fast_kernelIfEES1_S3_EEEEvPS1_PS2_i.kd
    .uniform_work_group_size: 1
    .uses_dynamic_stack: false
    .vgpr_count:     10
    .vgpr_spill_count: 0
    .wavefront_size: 32
    .workgroup_processor_mode: 1
  - .args:
      - .actual_access:  write_only
        .address_space:  global
        .offset:         0
        .size:           8
        .value_kind:     global_buffer
      - .actual_access:  read_only
        .address_space:  global
        .offset:         8
        .size:           8
        .value_kind:     global_buffer
      - .offset:         16
        .size:           4
        .value_kind:     by_value
      - .offset:         24
        .size:           4
        .value_kind:     hidden_block_count_x
      - .offset:         28
        .size:           4
        .value_kind:     hidden_block_count_y
      - .offset:         32
        .size:           4
        .value_kind:     hidden_block_count_z
      - .offset:         36
        .size:           2
        .value_kind:     hidden_group_size_x
      - .offset:         38
        .size:           2
        .value_kind:     hidden_group_size_y
      - .offset:         40
        .size:           2
        .value_kind:     hidden_group_size_z
      - .offset:         42
        .size:           2
        .value_kind:     hidden_remainder_x
      - .offset:         44
        .size:           2
        .value_kind:     hidden_remainder_y
      - .offset:         46
        .size:           2
        .value_kind:     hidden_remainder_z
      - .offset:         64
        .size:           8
        .value_kind:     hidden_global_offset_x
      - .offset:         72
        .size:           8
        .value_kind:     hidden_global_offset_y
      - .offset:         80
        .size:           8
        .value_kind:     hidden_global_offset_z
      - .offset:         88
        .size:           2
        .value_kind:     hidden_grid_dims
    .group_segment_fixed_size: 0
    .kernarg_segment_align: 8
    .kernarg_segment_size: 280
    .language:       OpenCL C
    .language_version:
      - 2
      - 0
    .max_flat_workgroup_size: 1024
    .name:           _ZN4vllm17activation_kernelIN3c104HalfETnPFT_RKS3_EXadL_ZNS_16gelu_fast_kernelIS2_EES3_S5_EEEEvPS3_PS4_i
    .private_segment_fixed_size: 0
    .sgpr_count:     18
    .sgpr_spill_count: 0
    .symbol:         _ZN4vllm17activation_kernelIN3c104HalfETnPFT_RKS3_EXadL_ZNS_16gelu_fast_kernelIS2_EES3_S5_EEEEvPS3_PS4_i.kd
    .uniform_work_group_size: 1
    .uses_dynamic_stack: false
    .vgpr_count:     10
    .vgpr_spill_count: 0
    .wavefront_size: 32
    .workgroup_processor_mode: 1
  - .args:
      - .actual_access:  write_only
        .address_space:  global
        .offset:         0
        .size:           8
        .value_kind:     global_buffer
      - .actual_access:  read_only
        .address_space:  global
        .offset:         8
        .size:           8
        .value_kind:     global_buffer
      - .offset:         16
        .size:           4
        .value_kind:     by_value
      - .offset:         24
        .size:           4
        .value_kind:     hidden_block_count_x
      - .offset:         28
        .size:           4
        .value_kind:     hidden_block_count_y
      - .offset:         32
        .size:           4
        .value_kind:     hidden_block_count_z
      - .offset:         36
        .size:           2
        .value_kind:     hidden_group_size_x
      - .offset:         38
        .size:           2
        .value_kind:     hidden_group_size_y
      - .offset:         40
        .size:           2
        .value_kind:     hidden_group_size_z
      - .offset:         42
        .size:           2
        .value_kind:     hidden_remainder_x
      - .offset:         44
        .size:           2
        .value_kind:     hidden_remainder_y
      - .offset:         46
        .size:           2
        .value_kind:     hidden_remainder_z
      - .offset:         64
        .size:           8
        .value_kind:     hidden_global_offset_x
      - .offset:         72
        .size:           8
        .value_kind:     hidden_global_offset_y
      - .offset:         80
        .size:           8
        .value_kind:     hidden_global_offset_z
      - .offset:         88
        .size:           2
        .value_kind:     hidden_grid_dims
    .group_segment_fixed_size: 0
    .kernarg_segment_align: 8
    .kernarg_segment_size: 280
    .language:       OpenCL C
    .language_version:
      - 2
      - 0
    .max_flat_workgroup_size: 1024
    .name:           _ZN4vllm17activation_kernelIN3c108BFloat16ETnPFT_RKS3_EXadL_ZNS_16gelu_fast_kernelIS2_EES3_S5_EEEEvPS3_PS4_i
    .private_segment_fixed_size: 0
    .sgpr_count:     18
    .sgpr_spill_count: 0
    .symbol:         _ZN4vllm17activation_kernelIN3c108BFloat16ETnPFT_RKS3_EXadL_ZNS_16gelu_fast_kernelIS2_EES3_S5_EEEEvPS3_PS4_i.kd
    .uniform_work_group_size: 1
    .uses_dynamic_stack: false
    .vgpr_count:     10
    .vgpr_spill_count: 0
    .wavefront_size: 32
    .workgroup_processor_mode: 1
  - .args:
      - .actual_access:  write_only
        .address_space:  global
        .offset:         0
        .size:           8
        .value_kind:     global_buffer
      - .actual_access:  read_only
        .address_space:  global
        .offset:         8
        .size:           8
        .value_kind:     global_buffer
      - .offset:         16
        .size:           4
        .value_kind:     by_value
      - .offset:         24
        .size:           4
        .value_kind:     hidden_block_count_x
      - .offset:         28
        .size:           4
        .value_kind:     hidden_block_count_y
      - .offset:         32
        .size:           4
        .value_kind:     hidden_block_count_z
      - .offset:         36
        .size:           2
        .value_kind:     hidden_group_size_x
      - .offset:         38
        .size:           2
        .value_kind:     hidden_group_size_y
      - .offset:         40
        .size:           2
        .value_kind:     hidden_group_size_z
      - .offset:         42
        .size:           2
        .value_kind:     hidden_remainder_x
      - .offset:         44
        .size:           2
        .value_kind:     hidden_remainder_y
      - .offset:         46
        .size:           2
        .value_kind:     hidden_remainder_z
      - .offset:         64
        .size:           8
        .value_kind:     hidden_global_offset_x
      - .offset:         72
        .size:           8
        .value_kind:     hidden_global_offset_y
      - .offset:         80
        .size:           8
        .value_kind:     hidden_global_offset_z
      - .offset:         88
        .size:           2
        .value_kind:     hidden_grid_dims
    .group_segment_fixed_size: 0
    .kernarg_segment_align: 8
    .kernarg_segment_size: 280
    .language:       OpenCL C
    .language_version:
      - 2
      - 0
    .max_flat_workgroup_size: 1024
    .name:           _ZN4vllm17activation_kernelIfTnPFT_RKS1_EXadL_ZNS_17gelu_quick_kernelIfEES1_S3_EEEEvPS1_PS2_i
    .private_segment_fixed_size: 0
    .sgpr_count:     18
    .sgpr_spill_count: 0
    .symbol:         _ZN4vllm17activation_kernelIfTnPFT_RKS1_EXadL_ZNS_17gelu_quick_kernelIfEES1_S3_EEEEvPS1_PS2_i.kd
    .uniform_work_group_size: 1
    .uses_dynamic_stack: false
    .vgpr_count:     12
    .vgpr_spill_count: 0
    .wavefront_size: 32
    .workgroup_processor_mode: 1
  - .args:
      - .actual_access:  write_only
        .address_space:  global
        .offset:         0
        .size:           8
        .value_kind:     global_buffer
      - .actual_access:  read_only
        .address_space:  global
        .offset:         8
        .size:           8
        .value_kind:     global_buffer
      - .offset:         16
        .size:           4
        .value_kind:     by_value
      - .offset:         24
        .size:           4
        .value_kind:     hidden_block_count_x
      - .offset:         28
        .size:           4
        .value_kind:     hidden_block_count_y
      - .offset:         32
        .size:           4
        .value_kind:     hidden_block_count_z
      - .offset:         36
        .size:           2
        .value_kind:     hidden_group_size_x
      - .offset:         38
        .size:           2
        .value_kind:     hidden_group_size_y
      - .offset:         40
        .size:           2
        .value_kind:     hidden_group_size_z
      - .offset:         42
        .size:           2
        .value_kind:     hidden_remainder_x
      - .offset:         44
        .size:           2
        .value_kind:     hidden_remainder_y
      - .offset:         46
        .size:           2
        .value_kind:     hidden_remainder_z
      - .offset:         64
        .size:           8
        .value_kind:     hidden_global_offset_x
      - .offset:         72
        .size:           8
        .value_kind:     hidden_global_offset_y
      - .offset:         80
        .size:           8
        .value_kind:     hidden_global_offset_z
      - .offset:         88
        .size:           2
        .value_kind:     hidden_grid_dims
    .group_segment_fixed_size: 0
    .kernarg_segment_align: 8
    .kernarg_segment_size: 280
    .language:       OpenCL C
    .language_version:
      - 2
      - 0
    .max_flat_workgroup_size: 1024
    .name:           _ZN4vllm17activation_kernelIN3c104HalfETnPFT_RKS3_EXadL_ZNS_17gelu_quick_kernelIS2_EES3_S5_EEEEvPS3_PS4_i
    .private_segment_fixed_size: 0
    .sgpr_count:     18
    .sgpr_spill_count: 0
    .symbol:         _ZN4vllm17activation_kernelIN3c104HalfETnPFT_RKS3_EXadL_ZNS_17gelu_quick_kernelIS2_EES3_S5_EEEEvPS3_PS4_i.kd
    .uniform_work_group_size: 1
    .uses_dynamic_stack: false
    .vgpr_count:     24
    .vgpr_spill_count: 0
    .wavefront_size: 32
    .workgroup_processor_mode: 1
  - .args:
      - .actual_access:  write_only
        .address_space:  global
        .offset:         0
        .size:           8
        .value_kind:     global_buffer
      - .actual_access:  read_only
        .address_space:  global
        .offset:         8
        .size:           8
        .value_kind:     global_buffer
      - .offset:         16
        .size:           4
        .value_kind:     by_value
      - .offset:         24
        .size:           4
        .value_kind:     hidden_block_count_x
      - .offset:         28
        .size:           4
        .value_kind:     hidden_block_count_y
      - .offset:         32
        .size:           4
        .value_kind:     hidden_block_count_z
      - .offset:         36
        .size:           2
        .value_kind:     hidden_group_size_x
      - .offset:         38
        .size:           2
        .value_kind:     hidden_group_size_y
      - .offset:         40
        .size:           2
        .value_kind:     hidden_group_size_z
      - .offset:         42
        .size:           2
        .value_kind:     hidden_remainder_x
      - .offset:         44
        .size:           2
        .value_kind:     hidden_remainder_y
      - .offset:         46
        .size:           2
        .value_kind:     hidden_remainder_z
      - .offset:         64
        .size:           8
        .value_kind:     hidden_global_offset_x
      - .offset:         72
        .size:           8
        .value_kind:     hidden_global_offset_y
      - .offset:         80
        .size:           8
        .value_kind:     hidden_global_offset_z
      - .offset:         88
        .size:           2
        .value_kind:     hidden_grid_dims
    .group_segment_fixed_size: 0
    .kernarg_segment_align: 8
    .kernarg_segment_size: 280
    .language:       OpenCL C
    .language_version:
      - 2
      - 0
    .max_flat_workgroup_size: 1024
    .name:           _ZN4vllm17activation_kernelIN3c108BFloat16ETnPFT_RKS3_EXadL_ZNS_17gelu_quick_kernelIS2_EES3_S5_EEEEvPS3_PS4_i
    .private_segment_fixed_size: 0
    .sgpr_count:     18
    .sgpr_spill_count: 0
    .symbol:         _ZN4vllm17activation_kernelIN3c108BFloat16ETnPFT_RKS3_EXadL_ZNS_17gelu_quick_kernelIS2_EES3_S5_EEEEvPS3_PS4_i.kd
    .uniform_work_group_size: 1
    .uses_dynamic_stack: false
    .vgpr_count:     24
    .vgpr_spill_count: 0
    .wavefront_size: 32
    .workgroup_processor_mode: 1
amdhsa.target:   amdgcn-amd-amdhsa--gfx1100
amdhsa.version:
  - 1
  - 2
...

	.end_amdgpu_metadata
